;; amdgpu-corpus repo=ROCm/rocFFT kind=compiled arch=gfx1100 opt=O3
	.text
	.amdgcn_target "amdgcn-amd-amdhsa--gfx1100"
	.amdhsa_code_object_version 6
	.protected	fft_rtc_back_len2016_factors_2_2_2_2_2_3_3_7_wgs_224_tpt_112_halfLds_dp_ip_CI_unitstride_sbrr_dirReg ; -- Begin function fft_rtc_back_len2016_factors_2_2_2_2_2_3_3_7_wgs_224_tpt_112_halfLds_dp_ip_CI_unitstride_sbrr_dirReg
	.globl	fft_rtc_back_len2016_factors_2_2_2_2_2_3_3_7_wgs_224_tpt_112_halfLds_dp_ip_CI_unitstride_sbrr_dirReg
	.p2align	8
	.type	fft_rtc_back_len2016_factors_2_2_2_2_2_3_3_7_wgs_224_tpt_112_halfLds_dp_ip_CI_unitstride_sbrr_dirReg,@function
fft_rtc_back_len2016_factors_2_2_2_2_2_3_3_7_wgs_224_tpt_112_halfLds_dp_ip_CI_unitstride_sbrr_dirReg: ; @fft_rtc_back_len2016_factors_2_2_2_2_2_3_3_7_wgs_224_tpt_112_halfLds_dp_ip_CI_unitstride_sbrr_dirReg
; %bb.0:
	s_clause 0x2
	s_load_b128 s[4:7], s[0:1], 0x0
	s_load_b64 s[8:9], s[0:1], 0x50
	s_load_b64 s[10:11], s[0:1], 0x18
	v_mul_u32_u24_e32 v1, 0x24a, v0
	v_mov_b32_e32 v3, 0
	v_mov_b32_e32 v4, 0
	s_delay_alu instid0(VALU_DEP_3) | instskip(SKIP_1) | instid1(VALU_DEP_2)
	v_lshrrev_b32_e32 v74, 16, v1
	v_mov_b32_e32 v1, 0
	v_lshl_add_u32 v5, s15, 1, v74
	s_delay_alu instid0(VALU_DEP_2) | instskip(SKIP_2) | instid1(VALU_DEP_1)
	v_mov_b32_e32 v6, v1
	s_waitcnt lgkmcnt(0)
	v_cmp_lt_u64_e64 s2, s[6:7], 2
	s_and_b32 vcc_lo, exec_lo, s2
	s_cbranch_vccnz .LBB0_8
; %bb.1:
	s_load_b64 s[2:3], s[0:1], 0x10
	v_mov_b32_e32 v3, 0
	s_add_u32 s12, s10, 8
	v_mov_b32_e32 v4, 0
	s_addc_u32 s13, s11, 0
	s_mov_b64 s[16:17], 1
	s_waitcnt lgkmcnt(0)
	s_add_u32 s14, s2, 8
	s_addc_u32 s15, s3, 0
.LBB0_2:                                ; =>This Inner Loop Header: Depth=1
	s_load_b64 s[18:19], s[14:15], 0x0
                                        ; implicit-def: $vgpr7_vgpr8
	s_mov_b32 s2, exec_lo
	s_waitcnt lgkmcnt(0)
	v_or_b32_e32 v2, s19, v6
	s_delay_alu instid0(VALU_DEP_1)
	v_cmpx_ne_u64_e32 0, v[1:2]
	s_xor_b32 s3, exec_lo, s2
	s_cbranch_execz .LBB0_4
; %bb.3:                                ;   in Loop: Header=BB0_2 Depth=1
	v_cvt_f32_u32_e32 v2, s18
	v_cvt_f32_u32_e32 v7, s19
	s_sub_u32 s2, 0, s18
	s_subb_u32 s20, 0, s19
	s_delay_alu instid0(VALU_DEP_1) | instskip(NEXT) | instid1(VALU_DEP_1)
	v_fmac_f32_e32 v2, 0x4f800000, v7
	v_rcp_f32_e32 v2, v2
	s_waitcnt_depctr 0xfff
	v_mul_f32_e32 v2, 0x5f7ffffc, v2
	s_delay_alu instid0(VALU_DEP_1) | instskip(NEXT) | instid1(VALU_DEP_1)
	v_mul_f32_e32 v7, 0x2f800000, v2
	v_trunc_f32_e32 v7, v7
	s_delay_alu instid0(VALU_DEP_1) | instskip(SKIP_1) | instid1(VALU_DEP_2)
	v_fmac_f32_e32 v2, 0xcf800000, v7
	v_cvt_u32_f32_e32 v7, v7
	v_cvt_u32_f32_e32 v2, v2
	s_delay_alu instid0(VALU_DEP_2) | instskip(NEXT) | instid1(VALU_DEP_2)
	v_mul_lo_u32 v8, s2, v7
	v_mul_hi_u32 v9, s2, v2
	v_mul_lo_u32 v10, s20, v2
	s_delay_alu instid0(VALU_DEP_2) | instskip(SKIP_1) | instid1(VALU_DEP_2)
	v_add_nc_u32_e32 v8, v9, v8
	v_mul_lo_u32 v9, s2, v2
	v_add_nc_u32_e32 v8, v8, v10
	s_delay_alu instid0(VALU_DEP_2) | instskip(NEXT) | instid1(VALU_DEP_2)
	v_mul_hi_u32 v10, v2, v9
	v_mul_lo_u32 v11, v2, v8
	v_mul_hi_u32 v12, v2, v8
	v_mul_hi_u32 v13, v7, v9
	v_mul_lo_u32 v9, v7, v9
	v_mul_hi_u32 v14, v7, v8
	v_mul_lo_u32 v8, v7, v8
	v_add_co_u32 v10, vcc_lo, v10, v11
	v_add_co_ci_u32_e32 v11, vcc_lo, 0, v12, vcc_lo
	s_delay_alu instid0(VALU_DEP_2) | instskip(NEXT) | instid1(VALU_DEP_2)
	v_add_co_u32 v9, vcc_lo, v10, v9
	v_add_co_ci_u32_e32 v9, vcc_lo, v11, v13, vcc_lo
	v_add_co_ci_u32_e32 v10, vcc_lo, 0, v14, vcc_lo
	s_delay_alu instid0(VALU_DEP_2) | instskip(NEXT) | instid1(VALU_DEP_2)
	v_add_co_u32 v8, vcc_lo, v9, v8
	v_add_co_ci_u32_e32 v9, vcc_lo, 0, v10, vcc_lo
	s_delay_alu instid0(VALU_DEP_2) | instskip(NEXT) | instid1(VALU_DEP_2)
	v_add_co_u32 v2, vcc_lo, v2, v8
	v_add_co_ci_u32_e32 v7, vcc_lo, v7, v9, vcc_lo
	s_delay_alu instid0(VALU_DEP_2) | instskip(SKIP_1) | instid1(VALU_DEP_3)
	v_mul_hi_u32 v8, s2, v2
	v_mul_lo_u32 v10, s20, v2
	v_mul_lo_u32 v9, s2, v7
	s_delay_alu instid0(VALU_DEP_1) | instskip(SKIP_1) | instid1(VALU_DEP_2)
	v_add_nc_u32_e32 v8, v8, v9
	v_mul_lo_u32 v9, s2, v2
	v_add_nc_u32_e32 v8, v8, v10
	s_delay_alu instid0(VALU_DEP_2) | instskip(NEXT) | instid1(VALU_DEP_2)
	v_mul_hi_u32 v10, v2, v9
	v_mul_lo_u32 v11, v2, v8
	v_mul_hi_u32 v12, v2, v8
	v_mul_hi_u32 v13, v7, v9
	v_mul_lo_u32 v9, v7, v9
	v_mul_hi_u32 v14, v7, v8
	v_mul_lo_u32 v8, v7, v8
	v_add_co_u32 v10, vcc_lo, v10, v11
	v_add_co_ci_u32_e32 v11, vcc_lo, 0, v12, vcc_lo
	s_delay_alu instid0(VALU_DEP_2) | instskip(NEXT) | instid1(VALU_DEP_2)
	v_add_co_u32 v9, vcc_lo, v10, v9
	v_add_co_ci_u32_e32 v9, vcc_lo, v11, v13, vcc_lo
	v_add_co_ci_u32_e32 v10, vcc_lo, 0, v14, vcc_lo
	s_delay_alu instid0(VALU_DEP_2) | instskip(NEXT) | instid1(VALU_DEP_2)
	v_add_co_u32 v8, vcc_lo, v9, v8
	v_add_co_ci_u32_e32 v9, vcc_lo, 0, v10, vcc_lo
	s_delay_alu instid0(VALU_DEP_2) | instskip(NEXT) | instid1(VALU_DEP_2)
	v_add_co_u32 v2, vcc_lo, v2, v8
	v_add_co_ci_u32_e32 v13, vcc_lo, v7, v9, vcc_lo
	s_delay_alu instid0(VALU_DEP_2) | instskip(SKIP_1) | instid1(VALU_DEP_3)
	v_mul_hi_u32 v14, v5, v2
	v_mad_u64_u32 v[9:10], null, v6, v2, 0
	v_mad_u64_u32 v[7:8], null, v5, v13, 0
	;; [unrolled: 1-line block ×3, first 2 shown]
	s_delay_alu instid0(VALU_DEP_2) | instskip(NEXT) | instid1(VALU_DEP_3)
	v_add_co_u32 v2, vcc_lo, v14, v7
	v_add_co_ci_u32_e32 v7, vcc_lo, 0, v8, vcc_lo
	s_delay_alu instid0(VALU_DEP_2) | instskip(NEXT) | instid1(VALU_DEP_2)
	v_add_co_u32 v2, vcc_lo, v2, v9
	v_add_co_ci_u32_e32 v2, vcc_lo, v7, v10, vcc_lo
	v_add_co_ci_u32_e32 v7, vcc_lo, 0, v12, vcc_lo
	s_delay_alu instid0(VALU_DEP_2) | instskip(NEXT) | instid1(VALU_DEP_2)
	v_add_co_u32 v2, vcc_lo, v2, v11
	v_add_co_ci_u32_e32 v9, vcc_lo, 0, v7, vcc_lo
	s_delay_alu instid0(VALU_DEP_2) | instskip(SKIP_1) | instid1(VALU_DEP_3)
	v_mul_lo_u32 v10, s19, v2
	v_mad_u64_u32 v[7:8], null, s18, v2, 0
	v_mul_lo_u32 v11, s18, v9
	s_delay_alu instid0(VALU_DEP_2) | instskip(NEXT) | instid1(VALU_DEP_2)
	v_sub_co_u32 v7, vcc_lo, v5, v7
	v_add3_u32 v8, v8, v11, v10
	s_delay_alu instid0(VALU_DEP_1) | instskip(NEXT) | instid1(VALU_DEP_1)
	v_sub_nc_u32_e32 v10, v6, v8
	v_subrev_co_ci_u32_e64 v10, s2, s19, v10, vcc_lo
	v_add_co_u32 v11, s2, v2, 2
	s_delay_alu instid0(VALU_DEP_1) | instskip(SKIP_3) | instid1(VALU_DEP_3)
	v_add_co_ci_u32_e64 v12, s2, 0, v9, s2
	v_sub_co_u32 v13, s2, v7, s18
	v_sub_co_ci_u32_e32 v8, vcc_lo, v6, v8, vcc_lo
	v_subrev_co_ci_u32_e64 v10, s2, 0, v10, s2
	v_cmp_le_u32_e32 vcc_lo, s18, v13
	s_delay_alu instid0(VALU_DEP_3) | instskip(SKIP_1) | instid1(VALU_DEP_4)
	v_cmp_eq_u32_e64 s2, s19, v8
	v_cndmask_b32_e64 v13, 0, -1, vcc_lo
	v_cmp_le_u32_e32 vcc_lo, s19, v10
	v_cndmask_b32_e64 v14, 0, -1, vcc_lo
	v_cmp_le_u32_e32 vcc_lo, s18, v7
	;; [unrolled: 2-line block ×3, first 2 shown]
	v_cndmask_b32_e64 v15, 0, -1, vcc_lo
	v_cmp_eq_u32_e32 vcc_lo, s19, v10
	s_delay_alu instid0(VALU_DEP_2) | instskip(SKIP_3) | instid1(VALU_DEP_3)
	v_cndmask_b32_e64 v7, v15, v7, s2
	v_cndmask_b32_e32 v10, v14, v13, vcc_lo
	v_add_co_u32 v13, vcc_lo, v2, 1
	v_add_co_ci_u32_e32 v14, vcc_lo, 0, v9, vcc_lo
	v_cmp_ne_u32_e32 vcc_lo, 0, v10
	s_delay_alu instid0(VALU_DEP_2) | instskip(NEXT) | instid1(VALU_DEP_4)
	v_cndmask_b32_e32 v8, v14, v12, vcc_lo
	v_cndmask_b32_e32 v10, v13, v11, vcc_lo
	v_cmp_ne_u32_e32 vcc_lo, 0, v7
	s_delay_alu instid0(VALU_DEP_2)
	v_dual_cndmask_b32 v7, v2, v10 :: v_dual_cndmask_b32 v8, v9, v8
.LBB0_4:                                ;   in Loop: Header=BB0_2 Depth=1
	s_and_not1_saveexec_b32 s2, s3
	s_cbranch_execz .LBB0_6
; %bb.5:                                ;   in Loop: Header=BB0_2 Depth=1
	v_cvt_f32_u32_e32 v2, s18
	s_sub_i32 s3, 0, s18
	s_delay_alu instid0(VALU_DEP_1) | instskip(SKIP_2) | instid1(VALU_DEP_1)
	v_rcp_iflag_f32_e32 v2, v2
	s_waitcnt_depctr 0xfff
	v_mul_f32_e32 v2, 0x4f7ffffe, v2
	v_cvt_u32_f32_e32 v2, v2
	s_delay_alu instid0(VALU_DEP_1) | instskip(NEXT) | instid1(VALU_DEP_1)
	v_mul_lo_u32 v7, s3, v2
	v_mul_hi_u32 v7, v2, v7
	s_delay_alu instid0(VALU_DEP_1) | instskip(NEXT) | instid1(VALU_DEP_1)
	v_add_nc_u32_e32 v2, v2, v7
	v_mul_hi_u32 v2, v5, v2
	s_delay_alu instid0(VALU_DEP_1) | instskip(SKIP_1) | instid1(VALU_DEP_2)
	v_mul_lo_u32 v7, v2, s18
	v_add_nc_u32_e32 v8, 1, v2
	v_sub_nc_u32_e32 v7, v5, v7
	s_delay_alu instid0(VALU_DEP_1) | instskip(SKIP_1) | instid1(VALU_DEP_2)
	v_subrev_nc_u32_e32 v9, s18, v7
	v_cmp_le_u32_e32 vcc_lo, s18, v7
	v_dual_cndmask_b32 v7, v7, v9 :: v_dual_cndmask_b32 v2, v2, v8
	s_delay_alu instid0(VALU_DEP_1) | instskip(NEXT) | instid1(VALU_DEP_2)
	v_cmp_le_u32_e32 vcc_lo, s18, v7
	v_add_nc_u32_e32 v8, 1, v2
	s_delay_alu instid0(VALU_DEP_1)
	v_dual_cndmask_b32 v7, v2, v8 :: v_dual_mov_b32 v8, v1
.LBB0_6:                                ;   in Loop: Header=BB0_2 Depth=1
	s_or_b32 exec_lo, exec_lo, s2
	s_load_b64 s[2:3], s[12:13], 0x0
	s_delay_alu instid0(VALU_DEP_1) | instskip(NEXT) | instid1(VALU_DEP_2)
	v_mul_lo_u32 v2, v8, s18
	v_mul_lo_u32 v11, v7, s19
	v_mad_u64_u32 v[9:10], null, v7, s18, 0
	s_add_u32 s16, s16, 1
	s_addc_u32 s17, s17, 0
	s_add_u32 s12, s12, 8
	s_addc_u32 s13, s13, 0
	;; [unrolled: 2-line block ×3, first 2 shown]
	s_delay_alu instid0(VALU_DEP_1) | instskip(SKIP_1) | instid1(VALU_DEP_2)
	v_add3_u32 v2, v10, v11, v2
	v_sub_co_u32 v9, vcc_lo, v5, v9
	v_sub_co_ci_u32_e32 v2, vcc_lo, v6, v2, vcc_lo
	s_waitcnt lgkmcnt(0)
	s_delay_alu instid0(VALU_DEP_2) | instskip(NEXT) | instid1(VALU_DEP_2)
	v_mul_lo_u32 v10, s3, v9
	v_mul_lo_u32 v2, s2, v2
	v_mad_u64_u32 v[5:6], null, s2, v9, v[3:4]
	v_cmp_ge_u64_e64 s2, s[16:17], s[6:7]
	s_delay_alu instid0(VALU_DEP_1) | instskip(NEXT) | instid1(VALU_DEP_2)
	s_and_b32 vcc_lo, exec_lo, s2
	v_add3_u32 v4, v10, v6, v2
	s_delay_alu instid0(VALU_DEP_3)
	v_mov_b32_e32 v3, v5
	s_cbranch_vccnz .LBB0_9
; %bb.7:                                ;   in Loop: Header=BB0_2 Depth=1
	v_dual_mov_b32 v5, v7 :: v_dual_mov_b32 v6, v8
	s_branch .LBB0_2
.LBB0_8:
	v_dual_mov_b32 v8, v6 :: v_dual_mov_b32 v7, v5
.LBB0_9:
	s_lshl_b64 s[2:3], s[6:7], 3
	v_mul_hi_u32 v1, 0x2492493, v0
	s_add_u32 s2, s10, s2
	s_addc_u32 s3, s11, s3
	s_load_b64 s[2:3], s[2:3], 0x0
	s_load_b64 s[0:1], s[0:1], 0x20
	s_delay_alu instid0(VALU_DEP_1) | instskip(NEXT) | instid1(VALU_DEP_1)
	v_mul_u32_u24_e32 v5, 0x70, v1
	v_sub_nc_u32_e32 v80, v0, v5
	s_delay_alu instid0(VALU_DEP_1)
	v_or_b32_e32 v72, 0x380, v80
	s_waitcnt lgkmcnt(0)
	v_mul_lo_u32 v6, s2, v8
	v_mul_lo_u32 v9, s3, v7
	v_mad_u64_u32 v[1:2], null, s2, v7, v[3:4]
	v_cmp_gt_u64_e32 vcc_lo, s[0:1], v[7:8]
	v_cmp_le_u64_e64 s0, s[0:1], v[7:8]
	s_delay_alu instid0(VALU_DEP_3) | instskip(NEXT) | instid1(VALU_DEP_2)
	v_add3_u32 v2, v9, v2, v6
	s_and_saveexec_b32 s1, s0
	s_delay_alu instid0(SALU_CYCLE_1)
	s_xor_b32 s0, exec_lo, s1
; %bb.10:
	v_or_b32_e32 v72, 0x380, v80
; %bb.11:
	s_or_saveexec_b32 s1, s0
	v_lshlrev_b64 v[82:83], 4, v[1:2]
                                        ; implicit-def: $vgpr66_vgpr67
                                        ; implicit-def: $vgpr46_vgpr47
                                        ; implicit-def: $vgpr62_vgpr63
                                        ; implicit-def: $vgpr42_vgpr43
                                        ; implicit-def: $vgpr70_vgpr71
                                        ; implicit-def: $vgpr26_vgpr27
                                        ; implicit-def: $vgpr54_vgpr55
                                        ; implicit-def: $vgpr30_vgpr31
                                        ; implicit-def: $vgpr58_vgpr59
                                        ; implicit-def: $vgpr14_vgpr15
                                        ; implicit-def: $vgpr22_vgpr23
                                        ; implicit-def: $vgpr10_vgpr11
                                        ; implicit-def: $vgpr18_vgpr19
                                        ; implicit-def: $vgpr50_vgpr51
                                        ; implicit-def: $vgpr34_vgpr35
                                        ; implicit-def: $vgpr6_vgpr7
                                        ; implicit-def: $vgpr38_vgpr39
                                        ; implicit-def: $vgpr2_vgpr3
	s_xor_b32 exec_lo, exec_lo, s1
	s_cbranch_execz .LBB0_13
; %bb.12:
	v_mov_b32_e32 v81, 0
	s_delay_alu instid0(VALU_DEP_2) | instskip(NEXT) | instid1(VALU_DEP_1)
	v_add_co_u32 v50, s0, s8, v82
	v_add_co_ci_u32_e64 v51, s0, s9, v83, s0
	s_delay_alu instid0(VALU_DEP_3) | instskip(SKIP_3) | instid1(VALU_DEP_4)
	v_lshlrev_b64 v[0:1], 4, v[80:81]
	v_or_b32_e32 v28, 0x700, v80
	v_mov_b32_e32 v29, v81
	v_mov_b32_e32 v73, v81
	v_add_co_u32 v40, s0, v50, v0
	s_delay_alu instid0(VALU_DEP_1) | instskip(NEXT) | instid1(VALU_DEP_4)
	v_add_co_ci_u32_e64 v41, s0, v51, v1, s0
	v_lshlrev_b64 v[46:47], 4, v[28:29]
	s_delay_alu instid0(VALU_DEP_3) | instskip(NEXT) | instid1(VALU_DEP_1)
	v_add_co_u32 v42, s0, 0x3000, v40
	v_add_co_ci_u32_e64 v43, s0, 0, v41, s0
	v_add_co_u32 v8, s0, 0x4000, v40
	s_delay_alu instid0(VALU_DEP_1) | instskip(SKIP_1) | instid1(VALU_DEP_1)
	v_add_co_ci_u32_e64 v9, s0, 0, v41, s0
	v_add_co_u32 v12, s0, 0x1000, v40
	v_add_co_ci_u32_e64 v13, s0, 0, v41, s0
	v_add_co_u32 v24, s0, 0x5000, v40
	s_delay_alu instid0(VALU_DEP_1) | instskip(SKIP_1) | instid1(VALU_DEP_1)
	v_add_co_ci_u32_e64 v25, s0, 0, v41, s0
	v_add_co_u32 v26, s0, 0x2000, v40
	v_add_co_ci_u32_e64 v27, s0, 0, v41, s0
	v_add_co_u32 v44, s0, 0x6000, v40
	v_lshlrev_b64 v[48:49], 4, v[72:73]
	v_add_co_ci_u32_e64 v45, s0, 0, v41, s0
	v_add_co_u32 v46, s0, v50, v46
	s_delay_alu instid0(VALU_DEP_1) | instskip(NEXT) | instid1(VALU_DEP_4)
	v_add_co_ci_u32_e64 v47, s0, v51, v47, s0
	v_add_co_u32 v64, s0, v50, v48
	s_delay_alu instid0(VALU_DEP_1) | instskip(SKIP_1) | instid1(VALU_DEP_1)
	v_add_co_ci_u32_e64 v65, s0, v51, v49, s0
	v_add_co_u32 v66, s0, 0x7000, v40
	v_add_co_ci_u32_e64 v67, s0, 0, v41, s0
	s_clause 0x11
	global_load_b128 v[0:3], v[40:41], off
	global_load_b128 v[4:7], v[40:41], off offset:1792
	global_load_b128 v[36:39], v[42:43], off offset:3840
	;; [unrolled: 1-line block ×14, first 2 shown]
	global_load_b128 v[60:63], v[46:47], off
	global_load_b128 v[44:47], v[64:65], off
	global_load_b128 v[64:67], v[66:67], off offset:1792
.LBB0_13:
	s_or_b32 exec_lo, exec_lo, s1
	s_waitcnt vmcnt(15)
	v_add_f64 v[36:37], v[0:1], -v[36:37]
	v_add_f64 v[114:115], v[2:3], -v[38:39]
	s_waitcnt vmcnt(14)
	v_add_f64 v[75:76], v[4:5], -v[32:33]
	v_add_f64 v[118:119], v[6:7], -v[34:35]
	;; [unrolled: 3-line block ×3, first 2 shown]
	v_add_f64 v[52:53], v[50:51], -v[18:19]
	v_add_f64 v[20:21], v[8:9], -v[20:21]
	;; [unrolled: 1-line block ×4, first 2 shown]
	s_waitcnt vmcnt(3)
	v_add_f64 v[68:69], v[24:25], -v[68:69]
	s_waitcnt vmcnt(2)
	v_add_f64 v[60:61], v[40:41], -v[60:61]
	;; [unrolled: 2-line block ×3, first 2 shown]
	v_add_f64 v[16:17], v[14:15], -v[58:59]
	v_add_f64 v[134:135], v[46:47], -v[66:67]
	;; [unrolled: 1-line block ×5, first 2 shown]
	v_and_b32_e32 v34, 1, v74
	v_lshlrev_b32_e32 v38, 3, v80
	v_add_nc_u32_e32 v81, 0x70, v80
	v_add_nc_u32_e32 v106, 0xe0, v80
	;; [unrolled: 1-line block ×3, first 2 shown]
	v_cmp_eq_u32_e64 s0, 1, v34
	v_add_nc_u32_e32 v97, 0x1c0, v80
	v_add_nc_u32_e32 v98, 0x230, v80
	;; [unrolled: 1-line block ×4, first 2 shown]
	v_cndmask_b32_e64 v110, 0, 0x3f00, s0
	v_cmp_gt_u32_e64 s0, 0x60, v80
	v_lshrrev_b32_e32 v150, 5, v106
	v_lshrrev_b32_e32 v152, 5, v97
	;; [unrolled: 1-line block ×3, first 2 shown]
	v_add_nc_u32_e32 v103, 0, v110
	v_add3_u32 v107, 0, v38, v110
	v_and_b32_e32 v154, 0xff, v81
	v_and_b32_e32 v155, 0xffff, v102
	;; [unrolled: 1-line block ×3, first 2 shown]
	v_fma_f64 v[34:35], v[0:1], 2.0, -v[36:37]
	v_fma_f64 v[112:113], v[2:3], 2.0, -v[114:115]
	;; [unrolled: 1-line block ×18, first 2 shown]
	v_lshlrev_b32_e32 v0, 3, v72
	v_lshl_add_u32 v78, v72, 4, v103
	v_add_nc_u32_e32 v8, 0x2a0, v80
	v_lshl_add_u32 v13, v80, 4, v103
	v_add_nc_u32_e32 v108, v103, v38
	v_lshl_add_u32 v44, v81, 4, v103
	v_sub_nc_u32_e32 v95, v78, v0
	v_lshl_add_u32 v45, v106, 4, v103
	v_add_nc_u32_e32 v96, 0x1800, v107
	v_lshl_add_u32 v48, v102, 4, v103
	v_lshl_add_u32 v49, v97, 4, v103
	v_add_nc_u32_e32 v94, 0x2000, v107
	v_lshl_add_u32 v70, v98, 4, v103
	v_lshl_add_u32 v71, v8, 4, v103
	v_lshl_add_u32 v77, v79, 4, v103
	v_add_nc_u32_e32 v111, 0x800, v107
	v_add_nc_u32_e32 v99, 0x2800, v107
	;; [unrolled: 1-line block ×5, first 2 shown]
	ds_store_b128 v13, v[34:37]
	ds_store_b128 v44, v[73:76]
	;; [unrolled: 1-line block ×9, first 2 shown]
	s_waitcnt lgkmcnt(0)
	s_barrier
	buffer_gl0_inv
	ds_load_b64 v[58:59], v108
	ds_load_b64 v[60:61], v95
	ds_load_2addr_b64 v[9:12], v96 offset0:16 offset1:240
	ds_load_2addr_b64 v[18:21], v107 offset0:112 offset1:224
	;; [unrolled: 1-line block ×7, first 2 shown]
	ds_load_2addr_b64 v[38:41], v100 offset1:112
	s_waitcnt lgkmcnt(0)
	s_barrier
	buffer_gl0_inv
	ds_store_b128 v13, v[112:115]
	ds_store_b128 v44, v[116:119]
	;; [unrolled: 1-line block ×4, first 2 shown]
	v_and_b32_e32 v118, 1, v80
	ds_store_b128 v49, v[14:17]
	ds_store_b128 v70, v[30:33]
	;; [unrolled: 1-line block ×5, first 2 shown]
	v_mov_b32_e32 v135, 0
	s_waitcnt lgkmcnt(0)
	v_lshlrev_b32_e32 v13, 4, v118
	s_barrier
	buffer_gl0_inv
	v_and_b32_e32 v124, 3, v80
	v_lshrrev_b32_e32 v149, 5, v81
	global_load_b128 v[13:16], v13, s[4:5]
	ds_load_2addr_b64 v[30:33], v96 offset0:16 offset1:240
	ds_load_2addr_b64 v[42:45], v94 offset0:96 offset1:208
	;; [unrolled: 1-line block ×4, first 2 shown]
	ds_load_2addr_b64 v[54:57], v100 offset1:112
	v_lshrrev_b32_e32 v151, 5, v102
	v_lshlrev_b32_e32 v119, 4, v124
	v_and_b32_e32 v156, 0xffff, v106
	s_mov_b32 s2, 0xe8584caa
	s_mov_b32 s3, 0xbfebb67a
	;; [unrolled: 1-line block ×4, first 2 shown]
	s_waitcnt vmcnt(0) lgkmcnt(1)
	v_mul_f64 v[75:76], v[52:53], v[15:16]
	s_waitcnt lgkmcnt(0)
	v_mul_f64 v[77:78], v[54:55], v[15:16]
	v_mul_f64 v[62:63], v[32:33], v[15:16]
	;; [unrolled: 1-line block ×17, first 2 shown]
	v_fma_f64 v[36:37], v[36:37], v[13:14], v[75:76]
	v_fma_f64 v[38:39], v[38:39], v[13:14], v[77:78]
	;; [unrolled: 1-line block ×5, first 2 shown]
	v_fma_f64 v[66:67], v[32:33], v[13:14], -v[86:87]
	v_fma_f64 v[0:1], v[0:1], v[13:14], v[64:65]
	v_fma_f64 v[42:43], v[42:43], v[13:14], -v[88:89]
	v_fma_f64 v[44:45], v[44:45], v[13:14], -v[90:91]
	v_fma_f64 v[4:5], v[4:5], v[13:14], v[68:69]
	v_fma_f64 v[46:47], v[46:47], v[13:14], -v[92:93]
	v_fma_f64 v[6:7], v[6:7], v[13:14], v[70:71]
	v_fma_f64 v[48:49], v[48:49], v[13:14], -v[104:105]
	v_fma_f64 v[64:65], v[34:35], v[13:14], v[73:74]
	v_fma_f64 v[50:51], v[50:51], v[13:14], -v[112:113]
	v_fma_f64 v[52:53], v[52:53], v[13:14], -v[114:115]
	;; [unrolled: 1-line block ×4, first 2 shown]
	ds_load_2addr_b64 v[11:14], v107 offset0:112 offset1:224
	ds_load_2addr_b64 v[32:35], v111 offset0:80 offset1:192
	ds_load_b64 v[75:76], v108
	v_add_f64 v[77:78], v[28:29], -v[36:37]
	v_add_f64 v[84:85], v[9:10], -v[38:39]
	ds_load_2addr_b64 v[36:39], v101 offset0:48 offset1:160
	ds_load_b64 v[86:87], v95
	v_add_f64 v[56:57], v[58:59], -v[62:63]
	v_add_f64 v[40:41], v[60:61], -v[40:41]
	s_waitcnt lgkmcnt(2)
	v_add_f64 v[66:67], v[75:76], -v[66:67]
	v_add_f64 v[62:63], v[18:19], -v[0:1]
	;; [unrolled: 1-line block ×10, first 2 shown]
	v_lshlrev_b32_e32 v2, 1, v106
	v_add_f64 v[54:55], v[30:31], -v[54:55]
	v_lshlrev_b32_e32 v3, 1, v102
	v_lshlrev_b32_e32 v4, 1, v97
	;; [unrolled: 1-line block ×4, first 2 shown]
	s_waitcnt lgkmcnt(1)
	v_add_f64 v[50:51], v[36:37], -v[50:51]
	v_add_f64 v[52:53], v[38:39], -v[52:53]
	s_waitcnt lgkmcnt(0)
	v_add_f64 v[88:89], v[86:87], -v[15:16]
	v_lshlrev_b32_e32 v8, 1, v79
	v_and_or_b32 v90, 0x7fc, v4, v118
	v_and_or_b32 v91, 0x5fc, v6, v118
	;; [unrolled: 1-line block ×3, first 2 shown]
	v_lshlrev_b32_e32 v0, 1, v80
	v_and_or_b32 v93, 0x7fc, v8, v118
	v_lshl_add_u32 v122, v90, 3, v103
	v_lshl_add_u32 v123, v91, 3, v103
	;; [unrolled: 1-line block ×3, first 2 shown]
	v_lshlrev_b32_e32 v5, 1, v81
	v_lshl_add_u32 v126, v93, 3, v103
	v_lshlrev_b32_e32 v1, 1, v72
	v_and_or_b32 v72, 0xfc, v0, v118
	s_barrier
	v_fma_f64 v[9:10], v[9:10], 2.0, -v[84:85]
	s_delay_alu instid0(VALU_DEP_3)
	v_and_or_b32 v79, 0x7fc, v1, v118
	v_fma_f64 v[15:16], v[58:59], 2.0, -v[56:57]
	v_fma_f64 v[58:59], v[60:61], 2.0, -v[40:41]
	v_and_or_b32 v60, 0x3fc, v2, v118
	v_and_or_b32 v61, 0x3fc, v3, v118
	v_fma_f64 v[17:18], v[18:19], 2.0, -v[62:63]
	v_fma_f64 v[19:20], v[20:21], 2.0, -v[68:69]
	;; [unrolled: 1-line block ×3, first 2 shown]
	v_lshl_add_u32 v120, v60, 3, v103
	v_lshl_add_u32 v121, v61, 3, v103
	v_fma_f64 v[60:61], v[75:76], 2.0, -v[66:67]
	v_fma_f64 v[75:76], v[11:12], 2.0, -v[42:43]
	;; [unrolled: 1-line block ×12, first 2 shown]
	v_and_or_b32 v29, 0x1fc, v5, v118
	v_lshl_add_u32 v72, v72, 3, v103
	v_lshl_add_u32 v79, v79, 3, v103
	buffer_gl0_inv
	v_lshl_add_u32 v118, v29, 3, v103
	ds_store_2addr_b64 v72, v[15:16], v[56:57] offset1:2
	ds_store_2addr_b64 v118, v[17:18], v[62:63] offset1:2
	;; [unrolled: 1-line block ×9, first 2 shown]
	s_waitcnt lgkmcnt(0)
	s_barrier
	buffer_gl0_inv
	ds_load_2addr_b64 v[9:12], v96 offset0:16 offset1:240
	ds_load_2addr_b64 v[13:16], v107 offset0:112 offset1:224
	;; [unrolled: 1-line block ×3, first 2 shown]
	ds_load_b64 v[68:69], v108
	ds_load_b64 v[70:71], v95
	ds_load_2addr_b64 v[21:24], v111 offset0:80 offset1:192
	ds_load_2addr_b64 v[25:28], v99 offset0:64 offset1:176
	;; [unrolled: 1-line block ×4, first 2 shown]
	ds_load_2addr_b64 v[37:40], v100 offset1:112
	s_waitcnt lgkmcnt(0)
	s_barrier
	buffer_gl0_inv
	ds_store_2addr_b64 v72, v[60:61], v[66:67] offset1:2
	ds_store_2addr_b64 v118, v[75:76], v[42:43] offset1:2
	;; [unrolled: 1-line block ×9, first 2 shown]
	s_waitcnt lgkmcnt(0)
	s_barrier
	buffer_gl0_inv
	global_load_b128 v[41:44], v119, s[4:5] offset:32
	ds_load_2addr_b64 v[45:48], v96 offset0:16 offset1:240
	ds_load_2addr_b64 v[49:52], v94 offset0:96 offset1:208
	;; [unrolled: 1-line block ×4, first 2 shown]
	ds_load_2addr_b64 v[61:64], v100 offset1:112
	v_and_b32_e32 v125, 7, v80
	s_waitcnt vmcnt(0) lgkmcnt(4)
	v_mul_f64 v[65:66], v[47:48], v[43:44]
	s_waitcnt lgkmcnt(3)
	v_mul_f64 v[72:73], v[49:50], v[43:44]
	v_mul_f64 v[74:75], v[51:52], v[43:44]
	s_waitcnt lgkmcnt(2)
	v_mul_f64 v[76:77], v[53:54], v[43:44]
	v_mul_f64 v[78:79], v[55:56], v[43:44]
	s_waitcnt lgkmcnt(1)
	v_mul_f64 v[84:85], v[57:58], v[43:44]
	v_mul_f64 v[86:87], v[59:60], v[43:44]
	v_mul_f64 v[92:93], v[11:12], v[43:44]
	;; [unrolled: 1-line block ×8, first 2 shown]
	s_waitcnt lgkmcnt(0)
	v_mul_f64 v[88:89], v[61:62], v[43:44]
	v_mul_f64 v[122:123], v[37:38], v[43:44]
	;; [unrolled: 1-line block ×4, first 2 shown]
	v_fma_f64 v[11:12], v[11:12], v[41:42], v[65:66]
	v_fma_f64 v[65:66], v[17:18], v[41:42], v[72:73]
	;; [unrolled: 1-line block ×7, first 2 shown]
	v_fma_f64 v[47:48], v[47:48], v[41:42], -v[92:93]
	v_fma_f64 v[49:50], v[49:50], v[41:42], -v[104:105]
	;; [unrolled: 1-line block ×7, first 2 shown]
	v_fma_f64 v[37:38], v[37:38], v[41:42], v[88:89]
	v_fma_f64 v[61:62], v[61:62], v[41:42], -v[122:123]
	v_fma_f64 v[39:40], v[39:40], v[41:42], v[90:91]
	v_fma_f64 v[41:42], v[63:64], v[41:42], -v[43:44]
	ds_load_2addr_b64 v[17:20], v107 offset0:112 offset1:224
	ds_load_2addr_b64 v[25:28], v111 offset0:80 offset1:192
	v_and_or_b32 v86, 0xf8, v0, v124
	v_and_or_b32 v87, 0x1f8, v5, v124
	;; [unrolled: 1-line block ×8, first 2 shown]
	v_lshl_add_u32 v115, v86, 3, v103
	v_lshl_add_u32 v116, v87, 3, v103
	;; [unrolled: 1-line block ×8, first 2 shown]
	v_and_or_b32 v114, 0x7f8, v1, v124
	v_add_f64 v[11:12], v[68:69], -v[11:12]
	v_add_f64 v[43:44], v[13:14], -v[65:66]
	;; [unrolled: 1-line block ×5, first 2 shown]
	ds_load_b64 v[76:77], v108
	v_add_f64 v[74:75], v[29:30], -v[33:34]
	v_add_f64 v[78:79], v[31:32], -v[35:36]
	ds_load_2addr_b64 v[33:36], v101 offset0:48 offset1:160
	ds_load_b64 v[84:85], v95
	s_waitcnt lgkmcnt(4)
	v_add_f64 v[49:50], v[17:18], -v[49:50]
	v_add_f64 v[51:52], v[19:20], -v[51:52]
	s_waitcnt lgkmcnt(3)
	v_add_f64 v[53:54], v[25:26], -v[53:54]
	v_add_f64 v[55:56], v[27:28], -v[55:56]
	v_lshl_add_u32 v114, v114, 3, v103
	v_add_f64 v[37:38], v[9:10], -v[37:38]
	v_add_f64 v[61:62], v[45:46], -v[61:62]
	;; [unrolled: 1-line block ×3, first 2 shown]
	s_waitcnt lgkmcnt(0)
	s_barrier
	buffer_gl0_inv
	v_add_f64 v[47:48], v[76:77], -v[47:48]
	v_add_f64 v[57:58], v[33:34], -v[57:58]
	;; [unrolled: 1-line block ×4, first 2 shown]
	v_fma_f64 v[67:68], v[68:69], 2.0, -v[11:12]
	v_fma_f64 v[13:14], v[13:14], 2.0, -v[43:44]
	;; [unrolled: 1-line block ×14, first 2 shown]
	v_lshlrev_b32_e32 v71, 4, v125
	ds_store_2addr_b64 v115, v[67:68], v[11:12] offset1:4
	ds_store_2addr_b64 v116, v[13:14], v[43:44] offset1:4
	;; [unrolled: 1-line block ×9, first 2 shown]
	v_fma_f64 v[76:77], v[76:77], 2.0, -v[47:48]
	v_fma_f64 v[104:105], v[33:34], 2.0, -v[57:58]
	;; [unrolled: 1-line block ×4, first 2 shown]
	s_waitcnt lgkmcnt(0)
	s_barrier
	buffer_gl0_inv
	ds_load_2addr_b64 v[9:12], v96 offset0:16 offset1:240
	ds_load_2addr_b64 v[13:16], v107 offset0:112 offset1:224
	;; [unrolled: 1-line block ×3, first 2 shown]
	ds_load_b64 v[65:66], v108
	ds_load_b64 v[67:68], v95
	ds_load_2addr_b64 v[21:24], v111 offset0:80 offset1:192
	ds_load_2addr_b64 v[25:28], v99 offset0:64 offset1:176
	ds_load_2addr_b64 v[29:32], v101 offset0:48 offset1:160
	ds_load_2addr_b64 v[33:36], v109 offset0:32 offset1:144
	ds_load_2addr_b64 v[37:40], v100 offset1:112
	s_waitcnt lgkmcnt(0)
	s_barrier
	buffer_gl0_inv
	ds_store_2addr_b64 v115, v[76:77], v[47:48] offset1:4
	ds_store_2addr_b64 v116, v[86:87], v[49:50] offset1:4
	;; [unrolled: 1-line block ×9, first 2 shown]
	s_waitcnt lgkmcnt(0)
	s_barrier
	buffer_gl0_inv
	global_load_b128 v[41:44], v71, s[4:5] offset:96
	ds_load_2addr_b64 v[45:48], v96 offset0:16 offset1:240
	ds_load_2addr_b64 v[49:52], v94 offset0:96 offset1:208
	;; [unrolled: 1-line block ×4, first 2 shown]
	ds_load_2addr_b64 v[61:64], v100 offset1:112
	v_and_b32_e32 v79, 15, v80
	s_waitcnt vmcnt(0) lgkmcnt(4)
	v_mul_f64 v[69:70], v[47:48], v[43:44]
	s_waitcnt lgkmcnt(3)
	v_mul_f64 v[71:72], v[49:50], v[43:44]
	v_mul_f64 v[73:74], v[51:52], v[43:44]
	s_waitcnt lgkmcnt(2)
	v_mul_f64 v[75:76], v[53:54], v[43:44]
	;; [unrolled: 3-line block ×3, first 2 shown]
	v_mul_f64 v[86:87], v[59:60], v[43:44]
	v_mul_f64 v[92:93], v[11:12], v[43:44]
	;; [unrolled: 1-line block ×8, first 2 shown]
	s_waitcnt lgkmcnt(0)
	v_mul_f64 v[88:89], v[61:62], v[43:44]
	v_mul_f64 v[122:123], v[37:38], v[43:44]
	;; [unrolled: 1-line block ×4, first 2 shown]
	v_fma_f64 v[11:12], v[11:12], v[41:42], v[69:70]
	v_fma_f64 v[69:70], v[17:18], v[41:42], v[71:72]
	;; [unrolled: 1-line block ×7, first 2 shown]
	v_fma_f64 v[47:48], v[47:48], v[41:42], -v[92:93]
	v_fma_f64 v[49:50], v[49:50], v[41:42], -v[104:105]
	;; [unrolled: 1-line block ×7, first 2 shown]
	v_fma_f64 v[37:38], v[37:38], v[41:42], v[88:89]
	v_fma_f64 v[61:62], v[61:62], v[41:42], -v[122:123]
	v_fma_f64 v[39:40], v[39:40], v[41:42], v[90:91]
	v_fma_f64 v[41:42], v[63:64], v[41:42], -v[43:44]
	ds_load_2addr_b64 v[17:20], v107 offset0:112 offset1:224
	ds_load_2addr_b64 v[25:28], v111 offset0:80 offset1:192
	v_and_or_b32 v86, 0xf0, v0, v125
	v_and_or_b32 v87, 0x1f0, v5, v125
	;; [unrolled: 1-line block ×8, first 2 shown]
	v_lshl_add_u32 v116, v86, 3, v103
	v_lshl_add_u32 v117, v87, 3, v103
	;; [unrolled: 1-line block ×8, first 2 shown]
	v_and_or_b32 v114, 0x7f0, v1, v125
	v_lshlrev_b32_e32 v115, 4, v79
	v_and_or_b32 v5, 0x1e0, v5, v79
	v_add_f64 v[11:12], v[65:66], -v[11:12]
	v_add_f64 v[43:44], v[13:14], -v[69:70]
	v_add_f64 v[63:64], v[15:16], -v[71:72]
	v_add_f64 v[69:70], v[21:22], -v[73:74]
	v_add_f64 v[71:72], v[23:24], -v[75:76]
	ds_load_b64 v[75:76], v108
	v_add_f64 v[73:74], v[29:30], -v[33:34]
	v_add_f64 v[77:78], v[31:32], -v[35:36]
	ds_load_2addr_b64 v[33:36], v101 offset0:48 offset1:160
	ds_load_b64 v[84:85], v95
	s_waitcnt lgkmcnt(4)
	v_add_f64 v[49:50], v[17:18], -v[49:50]
	v_add_f64 v[51:52], v[19:20], -v[51:52]
	s_waitcnt lgkmcnt(3)
	v_add_f64 v[53:54], v[25:26], -v[53:54]
	v_add_f64 v[55:56], v[27:28], -v[55:56]
	v_lshl_add_u32 v114, v114, 3, v103
	v_add_f64 v[37:38], v[9:10], -v[37:38]
	v_add_f64 v[61:62], v[45:46], -v[61:62]
	;; [unrolled: 1-line block ×3, first 2 shown]
	s_waitcnt lgkmcnt(0)
	s_barrier
	buffer_gl0_inv
	v_and_or_b32 v2, 0x3e0, v2, v79
	v_and_or_b32 v3, 0x3e0, v3, v79
	;; [unrolled: 1-line block ×5, first 2 shown]
	v_add_f64 v[47:48], v[75:76], -v[47:48]
	v_and_or_b32 v8, 0x7e0, v8, v79
	v_add_f64 v[57:58], v[33:34], -v[57:58]
	v_add_f64 v[59:60], v[35:36], -v[59:60]
	;; [unrolled: 1-line block ×3, first 2 shown]
	v_lshl_add_u32 v125, v5, 3, v103
	v_lshl_add_u32 v126, v2, 3, v103
	;; [unrolled: 1-line block ×7, first 2 shown]
	v_fma_f64 v[65:66], v[65:66], 2.0, -v[11:12]
	v_fma_f64 v[13:14], v[13:14], 2.0, -v[43:44]
	;; [unrolled: 1-line block ×14, first 2 shown]
	ds_store_2addr_b64 v116, v[65:66], v[11:12] offset1:8
	ds_store_2addr_b64 v117, v[13:14], v[43:44] offset1:8
	;; [unrolled: 1-line block ×9, first 2 shown]
	v_fma_f64 v[75:76], v[75:76], 2.0, -v[47:48]
	v_fma_f64 v[104:105], v[33:34], 2.0, -v[57:58]
	;; [unrolled: 1-line block ×4, first 2 shown]
	s_waitcnt lgkmcnt(0)
	s_barrier
	buffer_gl0_inv
	ds_load_2addr_b64 v[9:12], v96 offset0:16 offset1:240
	ds_load_2addr_b64 v[13:16], v107 offset0:112 offset1:224
	;; [unrolled: 1-line block ×3, first 2 shown]
	ds_load_b64 v[65:66], v108
	ds_load_b64 v[67:68], v95
	ds_load_2addr_b64 v[21:24], v111 offset0:80 offset1:192
	ds_load_2addr_b64 v[25:28], v99 offset0:64 offset1:176
	;; [unrolled: 1-line block ×4, first 2 shown]
	ds_load_2addr_b64 v[37:40], v100 offset1:112
	s_waitcnt lgkmcnt(0)
	s_barrier
	buffer_gl0_inv
	ds_store_2addr_b64 v116, v[75:76], v[47:48] offset1:8
	ds_store_2addr_b64 v117, v[86:87], v[49:50] offset1:8
	;; [unrolled: 1-line block ×9, first 2 shown]
	s_waitcnt lgkmcnt(0)
	s_barrier
	buffer_gl0_inv
	global_load_b128 v[41:44], v115, s[4:5] offset:224
	ds_load_2addr_b64 v[45:48], v96 offset0:16 offset1:240
	ds_load_2addr_b64 v[49:52], v94 offset0:96 offset1:208
	;; [unrolled: 1-line block ×4, first 2 shown]
	ds_load_2addr_b64 v[61:64], v100 offset1:112
	s_waitcnt vmcnt(0) lgkmcnt(4)
	v_mul_f64 v[69:70], v[47:48], v[43:44]
	s_waitcnt lgkmcnt(3)
	v_mul_f64 v[71:72], v[49:50], v[43:44]
	v_mul_f64 v[73:74], v[51:52], v[43:44]
	s_waitcnt lgkmcnt(2)
	v_mul_f64 v[75:76], v[53:54], v[43:44]
	;; [unrolled: 3-line block ×3, first 2 shown]
	v_mul_f64 v[86:87], v[59:60], v[43:44]
	v_mul_f64 v[92:93], v[11:12], v[43:44]
	;; [unrolled: 1-line block ×3, first 2 shown]
	s_waitcnt lgkmcnt(0)
	v_mul_f64 v[90:91], v[63:64], v[43:44]
	v_mul_f64 v[112:113], v[19:20], v[43:44]
	v_mul_f64 v[114:115], v[25:26], v[43:44]
	v_mul_f64 v[116:117], v[27:28], v[43:44]
	v_mul_f64 v[118:119], v[33:34], v[43:44]
	v_mul_f64 v[120:121], v[35:36], v[43:44]
	v_mul_f64 v[88:89], v[61:62], v[43:44]
	v_mul_f64 v[122:123], v[37:38], v[43:44]
	v_mul_f64 v[43:44], v[39:40], v[43:44]
	v_fma_f64 v[11:12], v[11:12], v[41:42], v[69:70]
	v_fma_f64 v[69:70], v[17:18], v[41:42], v[71:72]
	;; [unrolled: 1-line block ×7, first 2 shown]
	v_fma_f64 v[47:48], v[47:48], v[41:42], -v[92:93]
	v_fma_f64 v[49:50], v[49:50], v[41:42], -v[104:105]
	v_fma_f64 v[39:40], v[39:40], v[41:42], v[90:91]
	v_fma_f64 v[51:52], v[51:52], v[41:42], -v[112:113]
	v_fma_f64 v[53:54], v[53:54], v[41:42], -v[114:115]
	;; [unrolled: 1-line block ×5, first 2 shown]
	v_fma_f64 v[37:38], v[37:38], v[41:42], v[88:89]
	v_fma_f64 v[61:62], v[61:62], v[41:42], -v[122:123]
	v_fma_f64 v[41:42], v[63:64], v[41:42], -v[43:44]
	ds_load_2addr_b64 v[17:20], v107 offset0:112 offset1:224
	ds_load_2addr_b64 v[25:28], v111 offset0:80 offset1:192
	v_and_or_b32 v86, 0xe0, v0, v79
	v_and_or_b32 v87, 0x7e0, v1, v79
	v_and_b32_e32 v105, 31, v98
	v_and_b32_e32 v112, 31, v102
	v_and_b32_e32 v104, 31, v80
	v_lshl_add_u32 v124, v86, 3, v103
	s_delay_alu instid0(VALU_DEP_4) | instskip(NEXT) | instid1(VALU_DEP_4)
	v_lshlrev_b32_e32 v79, 5, v105
	v_lshlrev_b32_e32 v123, 5, v112
	v_add_f64 v[11:12], v[65:66], -v[11:12]
	v_add_f64 v[43:44], v[13:14], -v[69:70]
	;; [unrolled: 1-line block ×5, first 2 shown]
	ds_load_b64 v[75:76], v108
	v_add_f64 v[73:74], v[29:30], -v[33:34]
	v_add_f64 v[77:78], v[31:32], -v[35:36]
	ds_load_2addr_b64 v[33:36], v101 offset0:48 offset1:160
	ds_load_b64 v[84:85], v95
	s_waitcnt lgkmcnt(4)
	v_add_f64 v[90:91], v[17:18], -v[49:50]
	v_add_f64 v[39:40], v[67:68], -v[39:40]
	;; [unrolled: 1-line block ×3, first 2 shown]
	s_waitcnt lgkmcnt(3)
	v_add_f64 v[113:114], v[25:26], -v[53:54]
	v_add_f64 v[115:116], v[27:28], -v[55:56]
	s_waitcnt lgkmcnt(0)
	v_add_f64 v[37:38], v[9:10], -v[37:38]
	s_barrier
	buffer_gl0_inv
	v_add_f64 v[88:89], v[75:76], -v[47:48]
	v_add_f64 v[117:118], v[33:34], -v[57:58]
	;; [unrolled: 1-line block ×5, first 2 shown]
	v_lshlrev_b32_e32 v62, 5, v104
	v_fma_f64 v[0:1], v[65:66], 2.0, -v[11:12]
	v_fma_f64 v[13:14], v[13:14], 2.0, -v[43:44]
	;; [unrolled: 1-line block ×12, first 2 shown]
	v_lshl_add_u32 v19, v87, 3, v103
	v_fma_f64 v[9:10], v[9:10], 2.0, -v[37:38]
	ds_store_2addr_b64 v124, v[0:1], v[11:12] offset1:16
	ds_store_2addr_b64 v125, v[13:14], v[43:44] offset1:16
	;; [unrolled: 1-line block ×9, first 2 shown]
	v_fma_f64 v[65:66], v[75:76], 2.0, -v[88:89]
	v_fma_f64 v[33:34], v[33:34], 2.0, -v[117:118]
	v_fma_f64 v[75:76], v[35:36], 2.0, -v[119:120]
	v_fma_f64 v[45:46], v[45:46], 2.0, -v[60:61]
	v_fma_f64 v[121:122], v[84:85], 2.0, -v[41:42]
	s_waitcnt lgkmcnt(0)
	s_barrier
	buffer_gl0_inv
	ds_load_2addr_b64 v[0:3], v101 offset0:48 offset1:160
	ds_load_2addr_b64 v[36:39], v99 offset0:64 offset1:176
	;; [unrolled: 1-line block ×4, first 2 shown]
	ds_load_b64 v[84:85], v108
	ds_load_b64 v[86:87], v95
	ds_load_2addr_b64 v[52:55], v109 offset0:32 offset1:144
	ds_load_2addr_b64 v[8:11], v111 offset0:80 offset1:192
	;; [unrolled: 1-line block ×3, first 2 shown]
	ds_load_2addr_b64 v[48:51], v100 offset1:112
	s_waitcnt lgkmcnt(0)
	s_barrier
	buffer_gl0_inv
	ds_store_2addr_b64 v124, v[65:66], v[88:89] offset1:16
	ds_store_2addr_b64 v125, v[17:18], v[90:91] offset1:16
	;; [unrolled: 1-line block ×9, first 2 shown]
	s_waitcnt lgkmcnt(0)
	s_barrier
	buffer_gl0_inv
	s_clause 0x7
	global_load_b128 v[12:15], v79, s[4:5] offset:480
	global_load_b128 v[32:35], v123, s[4:5] offset:480
	;; [unrolled: 1-line block ×4, first 2 shown]
	global_load_b64 v[92:93], v79, s[4:5] offset:504
	global_load_b128 v[44:47], v79, s[4:5] offset:496
	global_load_b128 v[40:43], v62, s[4:5] offset:480
	;; [unrolled: 1-line block ×3, first 2 shown]
	v_and_b32_e32 v114, 31, v81
	v_lshrrev_b32_e32 v113, 5, v80
	s_delay_alu instid0(VALU_DEP_2) | instskip(NEXT) | instid1(VALU_DEP_2)
	v_lshlrev_b32_e32 v28, 5, v114
	v_mul_u32_u24_e32 v148, 0x60, v113
	v_cndmask_b32_e64 v113, v146, v80, s0
	global_load_b64 v[88:89], v28, s[4:5] offset:480
	ds_load_2addr_b64 v[72:75], v96 offset0:16 offset1:240
	ds_load_2addr_b64 v[68:71], v109 offset0:32 offset1:144
	ds_load_2addr_b64 v[64:67], v100 offset1:112
	ds_load_2addr_b64 v[76:79], v99 offset0:64 offset1:176
	ds_load_2addr_b64 v[28:31], v101 offset0:48 offset1:160
	ds_load_b64 v[90:91], v95
	ds_load_b64 v[138:139], v108
	ds_load_2addr_b64 v[115:118], v94 offset0:96 offset1:208
	s_waitcnt vmcnt(8) lgkmcnt(7)
	v_mul_f64 v[119:120], v[72:73], v[14:15]
	s_waitcnt vmcnt(7)
	v_mul_f64 v[121:122], v[74:75], v[34:35]
	s_waitcnt vmcnt(6) lgkmcnt(6)
	v_mul_f64 v[123:124], v[68:69], v[18:19]
	s_waitcnt vmcnt(5)
	v_mul_f64 v[125:126], v[70:71], v[26:27]
	s_waitcnt lgkmcnt(5)
	v_mul_f64 v[127:128], v[64:65], v[18:19]
	s_waitcnt vmcnt(4)
	v_mul_f64 v[129:130], v[66:67], v[92:93]
	s_waitcnt lgkmcnt(4)
	v_mul_f64 v[131:132], v[76:77], v[18:19]
	s_waitcnt vmcnt(3)
	v_mul_f64 v[133:134], v[78:79], v[46:47]
	s_waitcnt vmcnt(2) lgkmcnt(3)
	v_mul_f64 v[136:137], v[30:31], v[42:43]
	s_waitcnt lgkmcnt(2)
	v_mul_f64 v[140:141], v[90:91], v[42:43]
	s_waitcnt lgkmcnt(0)
	v_mul_f64 v[142:143], v[115:116], v[42:43]
	s_waitcnt vmcnt(1)
	v_mul_f64 v[144:145], v[117:118], v[60:61]
	v_mul_f64 v[34:35], v[58:59], v[34:35]
	;; [unrolled: 1-line block ×7, first 2 shown]
	s_waitcnt vmcnt(0)
	v_fma_f64 v[56:57], v[56:57], v[88:89], v[119:120]
	v_fma_f64 v[58:59], v[58:59], v[32:33], v[121:122]
	v_mul_f64 v[119:120], v[36:37], v[18:19]
	v_mul_f64 v[121:122], v[2:3], v[42:43]
	v_fma_f64 v[52:53], v[52:53], v[16:17], v[123:124]
	v_mul_f64 v[123:124], v[86:87], v[42:43]
	v_mul_f64 v[18:19], v[48:49], v[18:19]
	;; [unrolled: 1-line block ×3, first 2 shown]
	v_fma_f64 v[54:55], v[54:55], v[24:25], v[125:126]
	v_fma_f64 v[125:126], v[48:49], v[16:17], v[127:128]
	v_mul_f64 v[48:49], v[22:23], v[60:61]
	v_fma_f64 v[50:51], v[50:51], v[44:45], v[129:130]
	v_fma_f64 v[36:37], v[36:37], v[16:17], v[131:132]
	;; [unrolled: 1-line block ×7, first 2 shown]
	v_fma_f64 v[32:33], v[74:75], v[32:33], -v[34:35]
	v_fma_f64 v[72:73], v[72:73], v[88:89], -v[14:15]
	;; [unrolled: 1-line block ×6, first 2 shown]
	v_or_b32_e32 v128, v148, v104
	v_mul_u32_u24_e32 v130, 0x60, v150
	v_mul_u32_u24_e32 v86, 0x60, v152
	;; [unrolled: 1-line block ×3, first 2 shown]
	v_mul_lo_u16 v132, 0xab, v154
	v_mul_u32_u24_e32 v133, 0xaaab, v155
	v_lshl_add_u32 v140, v128, 3, v103
	v_or_b32_e32 v128, v130, v104
	v_or_b32_e32 v104, v86, v104
	;; [unrolled: 1-line block ×3, first 2 shown]
	v_lshrrev_b16 v154, 14, v132
	v_lshrrev_b32_e32 v155, 22, v133
	v_mul_u32_u24_e32 v137, 0xaaab, v157
	v_lshl_add_u32 v132, v104, 3, v103
	v_lshl_add_u32 v133, v105, 3, v103
	v_and_b32_e32 v127, 0xffff, v98
	v_fma_f64 v[34:35], v[76:77], v[16:17], -v[119:120]
	v_fma_f64 v[30:31], v[30:31], v[40:41], -v[121:122]
	v_lshrrev_b32_e32 v157, 22, v137
	v_fma_f64 v[68:69], v[90:91], v[40:41], -v[123:124]
	v_fma_f64 v[26:27], v[64:65], v[16:17], -v[18:19]
	;; [unrolled: 1-line block ×3, first 2 shown]
	v_add_f64 v[70:71], v[58:59], v[54:55]
	v_mul_u32_u24_e32 v129, 0x60, v149
	v_fma_f64 v[42:43], v[117:118], v[12:13], -v[48:49]
	v_mul_lo_u16 v12, 0x60, v154
	v_mul_lo_u16 v13, 0x60, v155
	v_add_f64 v[64:65], v[56:57], v[38:39]
	v_add_f64 v[48:49], v[2:3], v[36:37]
	;; [unrolled: 1-line block ×5, first 2 shown]
	v_sub_nc_u16 v137, v81, v12
	v_sub_nc_u16 v141, v102, v13
	v_add_f64 v[92:93], v[72:73], v[46:47]
	ds_load_2addr_b64 v[12:15], v107 offset0:112 offset1:224
	ds_load_2addr_b64 v[16:19], v111 offset0:80 offset1:192
	v_add_f64 v[116:117], v[32:33], v[24:25]
	v_mul_u32_u24_e32 v131, 0x60, v151
	v_mul_u32_u24_e32 v127, 0xaaab, v127
	v_or_b32_e32 v114, v129, v114
	v_add_f64 v[78:79], v[84:85], v[2:3]
	v_add_f64 v[118:119], v[8:9], v[58:59]
	v_or_b32_e32 v112, v131, v112
	v_lshrrev_b32_e32 v158, 22, v127
	v_lshl_add_u32 v124, v114, 3, v103
	v_lshl_add_u32 v131, v128, 3, v103
	v_add_f64 v[114:115], v[6:7], v[60:61]
	v_lshl_add_u32 v112, v112, 3, v103
	v_add_f64 v[102:103], v[4:5], v[56:57]
	v_add_f64 v[127:128], v[10:11], v[20:21]
	;; [unrolled: 1-line block ×3, first 2 shown]
	v_add_f64 v[2:3], v[2:3], -v[36:37]
	v_add_f64 v[56:57], v[56:57], -v[38:39]
	;; [unrolled: 1-line block ×4, first 2 shown]
	v_add_f64 v[88:89], v[30:31], v[34:35]
	v_add_f64 v[90:91], v[30:31], -v[34:35]
	v_add_f64 v[104:105], v[68:69], v[62:63]
	v_add_f64 v[30:31], v[138:139], v[30:31]
	;; [unrolled: 1-line block ×3, first 2 shown]
	v_fma_f64 v[8:9], v[70:71], -0.5, v[8:9]
	v_add_f64 v[70:71], v[40:41], -v[26:27]
	v_add_f64 v[122:123], v[42:43], v[44:45]
	s_waitcnt lgkmcnt(0)
	v_add_f64 v[40:41], v[18:19], v[40:41]
	v_add_f64 v[20:21], v[20:21], -v[125:126]
	v_fma_f64 v[4:5], v[64:65], -0.5, v[4:5]
	v_fma_f64 v[48:49], v[48:49], -0.5, v[84:85]
	v_add_f64 v[84:85], v[72:73], -v[46:47]
	v_add_f64 v[64:65], v[68:69], -v[62:63]
	v_fma_f64 v[6:7], v[66:67], -0.5, v[6:7]
	v_add_f64 v[66:67], v[32:33], -v[24:25]
	v_fma_f64 v[10:11], v[74:75], -0.5, v[10:11]
	;; [unrolled: 2-line block ×3, first 2 shown]
	v_add_f64 v[42:43], v[28:29], v[42:43]
	v_add_f64 v[72:73], v[12:13], v[72:73]
	v_fma_f64 v[12:13], v[92:93], -0.5, v[12:13]
	v_add_f64 v[68:69], v[14:15], v[68:69]
	v_add_f64 v[32:33], v[16:17], v[32:33]
	v_fma_f64 v[16:17], v[116:117], -0.5, v[16:17]
	v_add_f64 v[22:23], v[22:23], -v[50:51]
	v_lshlrev_b32_e32 v134, 1, v113
	v_mul_u32_u24_e32 v136, 0xaaab, v156
	v_add_f64 v[36:37], v[78:79], v[36:37]
	v_add_f64 v[52:53], v[114:115], v[52:53]
	;; [unrolled: 1-line block ×3, first 2 shown]
	v_lshlrev_b64 v[86:87], 4, v[134:135]
	v_lshrrev_b32_e32 v156, 22, v136
	v_mul_lo_u16 v135, 0x60, v157
	v_mul_lo_u16 v136, 0x60, v158
	v_add_f64 v[38:39], v[102:103], v[38:39]
	v_add_f64 v[78:79], v[127:128], v[125:126]
	;; [unrolled: 1-line block ×3, first 2 shown]
	v_fma_f64 v[76:77], v[88:89], -0.5, v[138:139]
	v_sub_nc_u16 v114, v97, v135
	v_fma_f64 v[14:15], v[104:105], -0.5, v[14:15]
	v_sub_nc_u16 v115, v98, v136
	v_fma_f64 v[18:19], v[120:121], -0.5, v[18:19]
	v_mul_lo_u16 v134, 0x60, v156
	v_and_b32_e32 v159, 0xff, v137
	v_fma_f64 v[28:29], v[122:123], -0.5, v[28:29]
	v_add_f64 v[40:41], v[40:41], v[26:27]
	v_and_b32_e32 v160, 0xffff, v141
	v_sub_nc_u16 v134, v106, v134
	v_fma_f64 v[88:89], v[90:91], s[2:3], v[48:49]
	v_fma_f64 v[48:49], v[90:91], s[6:7], v[48:49]
	;; [unrolled: 1-line block ×12, first 2 shown]
	v_add_f64 v[74:75], v[30:31], v[34:35]
	v_add_f64 v[42:43], v[42:43], v[44:45]
	;; [unrolled: 1-line block ×5, first 2 shown]
	v_fma_f64 v[97:98], v[58:59], s[6:7], v[16:17]
	v_fma_f64 v[58:59], v[58:59], s[2:3], v[16:17]
	v_and_b32_e32 v161, 0xffff, v134
	v_add_co_u32 v86, s0, s4, v86
	s_delay_alu instid0(VALU_DEP_1)
	v_add_co_ci_u32_e64 v87, s0, s5, v87, s0
	v_lshlrev_b32_e32 v116, 5, v159
	s_barrier
	v_fma_f64 v[44:45], v[2:3], s[6:7], v[76:77]
	v_fma_f64 v[72:73], v[2:3], s[2:3], v[76:77]
	;; [unrolled: 1-line block ×10, first 2 shown]
	buffer_gl0_inv
	ds_store_2addr_b64 v140, v[36:37], v[88:89] offset1:32
	ds_store_b64 v140, v[48:49] offset:512
	ds_store_2addr_b64 v124, v[38:39], v[90:91] offset1:32
	ds_store_b64 v124, v[4:5] offset:512
	;; [unrolled: 2-line block ×6, first 2 shown]
	s_waitcnt lgkmcnt(0)
	s_barrier
	buffer_gl0_inv
	ds_load_2addr_b64 v[0:3], v101 offset0:48 offset1:160
	ds_load_2addr_b64 v[4:7], v99 offset0:64 offset1:176
	ds_load_b64 v[150:151], v108
	ds_load_b64 v[64:65], v95
	ds_load_2addr_b64 v[8:11], v107 offset0:112 offset1:224
	ds_load_2addr_b64 v[12:15], v96 offset0:16 offset1:240
	ds_load_2addr_b64 v[16:19], v109 offset0:32 offset1:144
	ds_load_2addr_b64 v[24:27], v111 offset0:80 offset1:192
	ds_load_2addr_b64 v[28:31], v94 offset0:96 offset1:208
	ds_load_2addr_b64 v[32:35], v100 offset1:112
	s_waitcnt lgkmcnt(0)
	s_barrier
	buffer_gl0_inv
	ds_store_2addr_b64 v140, v[74:75], v[44:45] offset1:32
	ds_store_b64 v140, v[72:73] offset:512
	ds_store_2addr_b64 v124, v[46:47], v[76:77] offset1:32
	ds_store_b64 v124, v[56:57] offset:512
	;; [unrolled: 2-line block ×6, first 2 shown]
	v_lshlrev_b32_e32 v20, 5, v161
	v_lshlrev_b32_e32 v117, 5, v160
	v_and_b32_e32 v162, 0xffff, v114
	s_waitcnt lgkmcnt(0)
	s_barrier
	buffer_gl0_inv
	s_clause 0x1
	global_load_b128 v[48:51], v[86:87], off offset:1520
	global_load_b128 v[52:55], v116, s[4:5] offset:1520
	v_and_b32_e32 v163, 0xffff, v115
	s_clause 0x4
	global_load_b128 v[56:59], v116, s[4:5] offset:1504
	global_load_b128 v[60:63], v117, s[4:5] offset:1504
	;; [unrolled: 1-line block ×3, first 2 shown]
	global_load_b128 v[84:87], v[86:87], off offset:1504
	global_load_b128 v[102:105], v117, s[4:5] offset:1520
	v_lshlrev_b32_e32 v21, 5, v162
	v_cmp_lt_u32_e64 s0, 0x5f, v80
	v_lshlrev_b32_e32 v22, 5, v163
	s_clause 0x4
	global_load_b128 v[114:117], v20, s[4:5] offset:1504
	global_load_b128 v[118:121], v21, s[4:5] offset:1504
	;; [unrolled: 1-line block ×5, first 2 shown]
	ds_load_2addr_b64 v[134:137], v99 offset0:64 offset1:176
	ds_load_2addr_b64 v[96:99], v96 offset0:16 offset1:240
	;; [unrolled: 1-line block ×4, first 2 shown]
	ds_load_b64 v[152:153], v95
	ds_load_2addr_b64 v[142:145], v94 offset0:96 offset1:208
	ds_load_2addr_b64 v[146:149], v100 offset1:112
	ds_load_b64 v[36:37], v108
	s_waitcnt vmcnt(11) lgkmcnt(7)
	v_mul_f64 v[38:39], v[134:135], v[50:51]
	s_waitcnt vmcnt(10)
	v_mul_f64 v[40:41], v[136:137], v[54:55]
	s_waitcnt vmcnt(9) lgkmcnt(6)
	v_mul_f64 v[42:43], v[96:97], v[58:59]
	s_waitcnt vmcnt(6) lgkmcnt(4)
	v_mul_f64 v[66:67], v[22:23], v[86:87]
	v_mul_f64 v[44:45], v[98:99], v[62:63]
	;; [unrolled: 1-line block ×3, first 2 shown]
	s_waitcnt vmcnt(4) lgkmcnt(3)
	v_mul_f64 v[70:71], v[152:153], v[116:117]
	v_mul_f64 v[68:69], v[140:141], v[104:105]
	s_waitcnt vmcnt(3) lgkmcnt(2)
	v_mul_f64 v[74:75], v[142:143], v[120:121]
	s_waitcnt vmcnt(1) lgkmcnt(1)
	v_mul_f64 v[92:93], v[146:147], v[128:129]
	v_mul_f64 v[90:91], v[144:145], v[124:125]
	s_waitcnt vmcnt(0)
	v_mul_f64 v[94:95], v[148:149], v[132:133]
	v_mul_f64 v[50:51], v[4:5], v[50:51]
	v_mul_f64 v[54:55], v[6:7], v[54:55]
	v_mul_f64 v[100:101], v[14:15], v[62:63]
	v_mul_f64 v[58:59], v[12:13], v[58:59]
	v_fma_f64 v[62:63], v[4:5], v[48:49], v[38:39]
	v_fma_f64 v[38:39], v[6:7], v[52:53], v[40:41]
	v_mul_f64 v[4:5], v[16:17], v[78:79]
	v_mul_f64 v[6:7], v[2:3], v[86:87]
	v_fma_f64 v[88:89], v[2:3], v[84:85], v[66:67]
	v_fma_f64 v[42:43], v[12:13], v[56:57], v[42:43]
	;; [unrolled: 1-line block ×3, first 2 shown]
	v_mul_f64 v[12:13], v[18:19], v[104:105]
	v_fma_f64 v[44:45], v[16:17], v[76:77], v[46:47]
	v_mul_f64 v[16:17], v[64:65], v[116:117]
	v_fma_f64 v[72:73], v[64:65], v[114:115], v[70:71]
	v_fma_f64 v[46:47], v[18:19], v[102:103], v[68:69]
	v_mul_f64 v[2:3], v[30:31], v[124:125]
	v_mul_f64 v[14:15], v[28:29], v[120:121]
	;; [unrolled: 1-line block ×3, first 2 shown]
	v_fma_f64 v[68:69], v[28:29], v[118:119], v[74:75]
	v_fma_f64 v[74:75], v[32:33], v[126:127], v[92:93]
	;; [unrolled: 1-line block ×3, first 2 shown]
	v_mul_f64 v[28:29], v[34:35], v[132:133]
	v_fma_f64 v[70:71], v[34:35], v[130:131], v[94:95]
	v_fma_f64 v[66:67], v[134:135], v[48:49], -v[50:51]
	v_fma_f64 v[94:95], v[96:97], v[56:57], -v[58:59]
	v_fma_f64 v[90:91], v[98:99], v[60:61], -v[100:101]
	v_add_nc_u32_e32 v116, 0x1e00, v107
	v_add_nc_u32_e32 v117, 0x2600, v107
	v_fma_f64 v[78:79], v[138:139], v[76:77], -v[4:5]
	v_fma_f64 v[92:93], v[22:23], v[84:85], -v[6:7]
	v_add_f64 v[4:5], v[88:89], v[62:63]
	v_fma_f64 v[22:23], v[136:137], v[52:53], -v[54:55]
	v_add_f64 v[6:7], v[42:43], v[38:39]
	;; [unrolled: 2-line block ×4, first 2 shown]
	v_add_f64 v[32:33], v[10:11], v[72:73]
	v_fma_f64 v[102:103], v[144:145], v[122:123], -v[2:3]
	v_add_f64 v[2:3], v[40:41], v[46:47]
	v_fma_f64 v[96:97], v[142:143], v[118:119], -v[14:15]
	v_fma_f64 v[100:101], v[146:147], v[126:127], -v[18:19]
	v_add_f64 v[14:15], v[68:69], v[74:75]
	v_add_f64 v[18:19], v[150:151], v[88:89]
	v_fma_f64 v[104:105], v[148:149], v[130:131], -v[28:29]
	v_add_f64 v[16:17], v[64:65], v[70:71]
	v_add_f64 v[34:35], v[24:25], v[40:41]
	;; [unrolled: 1-line block ×4, first 2 shown]
	v_add_nc_u32_e32 v114, 0xc00, v107
	v_add_nc_u32_e32 v115, 0x1400, v107
	v_add_f64 v[28:29], v[92:93], -v[66:67]
	v_fma_f64 v[4:5], v[4:5], -0.5, v[150:151]
	v_add_f64 v[52:53], v[94:95], -v[22:23]
	v_fma_f64 v[6:7], v[6:7], -0.5, v[8:9]
	;; [unrolled: 2-line block ×3, first 2 shown]
	v_add_f64 v[12:13], v[90:91], -v[86:87]
	v_add_f64 v[56:57], v[32:33], v[44:45]
	v_fma_f64 v[2:3], v[2:3], -0.5, v[24:25]
	v_add_f64 v[24:25], v[96:97], -v[100:101]
	v_fma_f64 v[14:15], v[14:15], -0.5, v[26:27]
	v_add_f64 v[26:27], v[102:103], -v[104:105]
	v_fma_f64 v[0:1], v[16:17], -0.5, v[0:1]
	v_cndmask_b32_e64 v16, 0, 0x900, s0
	v_lshlrev_b32_e32 v17, 3, v113
	v_add_f64 v[58:59], v[34:35], v[46:47]
	v_add_f64 v[60:61], v[48:49], v[74:75]
	v_add_f64 v[50:51], v[50:51], v[70:71]
	v_add_nc_u32_e32 v16, 0, v16
	v_add_nc_u32_e32 v113, 0x200, v107
	v_cmp_gt_u32_e64 s0, 64, v80
	s_delay_alu instid0(VALU_DEP_3)
	v_add3_u32 v112, v16, v17, v110
	v_add_f64 v[16:17], v[18:19], v[62:63]
	v_add_f64 v[18:19], v[30:31], v[38:39]
	v_fma_f64 v[76:77], v[28:29], s[2:3], v[4:5]
	v_fma_f64 v[4:5], v[28:29], s[6:7], v[4:5]
	;; [unrolled: 1-line block ×4, first 2 shown]
	v_lshlrev_b32_e32 v28, 3, v162
	v_lshlrev_b32_e32 v29, 3, v163
	v_fma_f64 v[122:123], v[8:9], s[2:3], v[10:11]
	v_fma_f64 v[8:9], v[8:9], s[6:7], v[10:11]
	;; [unrolled: 1-line block ×6, first 2 shown]
	v_lshlrev_b32_e32 v25, 3, v159
	v_fma_f64 v[54:55], v[26:27], s[2:3], v[0:1]
	v_fma_f64 v[52:53], v[26:27], s[6:7], v[0:1]
	v_and_b32_e32 v0, 0xffff, v154
	v_mad_u32_u24 v1, 0x900, v156, 0
	v_lshlrev_b32_e32 v26, 3, v161
	v_mad_u32_u24 v14, 0x900, v155, 0
	v_mad_u32_u24 v15, 0x900, v157, 0
	;; [unrolled: 1-line block ×4, first 2 shown]
	v_lshlrev_b32_e32 v27, 3, v160
	v_add3_u32 v120, v1, v26, v110
	v_add3_u32 v118, v15, v28, v110
	v_add3_u32 v121, v0, v25, v110
	s_delay_alu instid0(VALU_DEP_4)
	v_add3_u32 v119, v14, v27, v110
	v_add3_u32 v110, v24, v29, v110
	ds_load_2addr_b64 v[28:31], v111 offset0:80 offset1:192
	ds_load_2addr_b64 v[32:35], v107 offset0:112 offset1:224
	s_waitcnt lgkmcnt(0)
	s_barrier
	buffer_gl0_inv
	ds_store_2addr_b64 v112, v[16:17], v[76:77] offset1:96
	ds_store_b64 v112, v[4:5] offset:1536
	ds_store_2addr_b64 v121, v[18:19], v[84:85] offset1:96
	ds_store_b64 v121, v[6:7] offset:1536
	;; [unrolled: 2-line block ×6, first 2 shown]
	s_waitcnt lgkmcnt(0)
	s_barrier
	buffer_gl0_inv
	ds_load_b64 v[76:77], v108
	ds_load_b64 v[84:85], v107 offset:14720
	ds_load_2addr_b64 v[0:3], v113 offset0:48 offset1:224
	ds_load_2addr_b64 v[12:15], v114 offset0:16 offset1:192
	;; [unrolled: 1-line block ×6, first 2 shown]
                                        ; implicit-def: $vgpr60_vgpr61
                                        ; implicit-def: $vgpr58_vgpr59
                                        ; implicit-def: $vgpr56_vgpr57
	s_and_saveexec_b32 s1, s0
	s_cbranch_execz .LBB0_15
; %bb.14:
	ds_load_b64 v[48:49], v107 offset:1792
	ds_load_b64 v[50:51], v107 offset:4096
	;; [unrolled: 1-line block ×7, first 2 shown]
.LBB0_15:
	s_or_b32 exec_lo, exec_lo, s1
	v_add_f64 v[122:123], v[92:93], v[66:67]
	v_add_f64 v[124:125], v[94:95], v[22:23]
	;; [unrolled: 1-line block ×7, first 2 shown]
	v_add_f64 v[62:63], v[88:89], -v[62:63]
	v_add_f64 v[90:91], v[28:29], v[90:91]
	v_add_f64 v[88:89], v[32:33], v[94:95]
	v_add_f64 v[38:39], v[42:43], -v[38:39]
	v_add_f64 v[94:95], v[34:35], v[98:99]
	v_add_f64 v[42:43], v[72:73], -v[44:45]
	v_add_f64 v[40:41], v[40:41], -v[46:47]
	v_add_f64 v[96:97], v[30:31], v[96:97]
	v_add_f64 v[44:45], v[68:69], -v[74:75]
	v_add_f64 v[98:99], v[20:21], v[102:103]
	v_add_f64 v[46:47], v[64:65], -v[70:71]
	s_waitcnt lgkmcnt(0)
	s_barrier
	buffer_gl0_inv
	v_fma_f64 v[36:37], v[122:123], -0.5, v[36:37]
	v_fma_f64 v[32:33], v[124:125], -0.5, v[32:33]
	;; [unrolled: 1-line block ×6, first 2 shown]
	v_add_f64 v[70:71], v[92:93], v[66:67]
	v_add_f64 v[74:75], v[90:91], v[86:87]
	;; [unrolled: 1-line block ×6, first 2 shown]
	v_fma_f64 v[86:87], v[62:63], s[6:7], v[36:37]
	v_fma_f64 v[36:37], v[62:63], s[2:3], v[36:37]
	;; [unrolled: 1-line block ×12, first 2 shown]
	ds_store_2addr_b64 v112, v[70:71], v[86:87] offset1:96
	ds_store_b64 v112, v[36:37] offset:1536
	ds_store_2addr_b64 v121, v[22:23], v[88:89] offset1:96
	ds_store_b64 v121, v[32:33] offset:1536
	;; [unrolled: 2-line block ×6, first 2 shown]
	s_waitcnt lgkmcnt(0)
	s_barrier
	buffer_gl0_inv
	ds_load_2addr_b64 v[20:23], v113 offset0:48 offset1:224
	ds_load_2addr_b64 v[40:43], v114 offset0:16 offset1:192
	;; [unrolled: 1-line block ×6, first 2 shown]
	ds_load_b64 v[78:79], v108
	ds_load_b64 v[86:87], v107 offset:14720
                                        ; implicit-def: $vgpr74_vgpr75
                                        ; implicit-def: $vgpr72_vgpr73
                                        ; implicit-def: $vgpr70_vgpr71
	s_and_saveexec_b32 s1, s0
	s_cbranch_execz .LBB0_17
; %bb.16:
	ds_load_b64 v[62:63], v107 offset:1792
	ds_load_b64 v[64:65], v107 offset:4096
	;; [unrolled: 1-line block ×7, first 2 shown]
.LBB0_17:
	s_or_b32 exec_lo, exec_lo, s1
	s_and_saveexec_b32 s1, vcc_lo
	s_cbranch_execz .LBB0_20
; %bb.18:
	v_mul_u32_u24_e32 v81, 6, v81
	v_mul_u32_u24_e32 v88, 6, v80
	s_mov_b32 s2, 0xe976ee23
	s_mov_b32 s12, 0x37e14327
	;; [unrolled: 1-line block ×3, first 2 shown]
	v_lshlrev_b32_e32 v81, 4, v81
	v_lshlrev_b32_e32 v96, 4, v88
	s_mov_b32 s6, 0x429ad128
	s_mov_b32 s3, 0x3fe11646
	s_mov_b32 s13, 0x3fe948f6
	v_add_co_u32 v81, s1, s4, v81
	s_delay_alu instid0(VALU_DEP_1) | instskip(SKIP_1) | instid1(VALU_DEP_2)
	v_add_co_ci_u32_e64 v90, null, s5, 0, s1
	s_mov_b32 s11, 0x3fac98ee
	v_add_co_u32 v88, vcc_lo, 0x1220, v81
	s_delay_alu instid0(VALU_DEP_2) | instskip(SKIP_4) | instid1(VALU_DEP_1)
	v_add_co_ci_u32_e32 v89, vcc_lo, 0, v90, vcc_lo
	v_add_co_u32 v100, vcc_lo, 0x1000, v81
	v_add_co_ci_u32_e32 v101, vcc_lo, 0, v90, vcc_lo
	v_add_co_u32 v104, vcc_lo, 0x11e0, v81
	v_add_co_u32 v81, s1, s4, v96
	v_add_co_ci_u32_e64 v109, null, s5, 0, s1
	v_add_co_ci_u32_e32 v105, vcc_lo, 0, v90, vcc_lo
	s_delay_alu instid0(VALU_DEP_3) | instskip(NEXT) | instid1(VALU_DEP_3)
	v_add_co_u32 v107, vcc_lo, 0x1220, v81
	v_add_co_ci_u32_e32 v108, vcc_lo, 0, v109, vcc_lo
	v_add_co_u32 v115, vcc_lo, 0x1000, v81
	v_add_co_ci_u32_e32 v116, vcc_lo, 0, v109, vcc_lo
	s_clause 0x3
	global_load_b128 v[88:91], v[88:89], off offset:16
	global_load_b128 v[92:95], v[100:101], off offset:480
	;; [unrolled: 1-line block ×4, first 2 shown]
	v_add_co_u32 v135, vcc_lo, 0x11e0, v81
	v_add_co_ci_u32_e32 v136, vcc_lo, 0, v109, vcc_lo
	s_clause 0x7
	global_load_b128 v[107:110], v[107:108], off offset:16
	global_load_b128 v[111:114], v[115:116], off offset:480
	;; [unrolled: 1-line block ×8, first 2 shown]
	s_mov_b32 s7, 0xbfebfeb5
	s_mov_b32 s14, 0xb247c609
	;; [unrolled: 1-line block ×13, first 2 shown]
	v_mov_b32_e32 v81, 0
	s_waitcnt vmcnt(11) lgkmcnt(0)
	v_mul_f64 v[104:105], v[86:87], v[90:91]
	v_mul_f64 v[90:91], v[84:85], v[90:91]
	s_waitcnt vmcnt(10)
	v_mul_f64 v[139:140], v[40:41], v[94:95]
	v_mul_f64 v[94:95], v[12:13], v[94:95]
	s_waitcnt vmcnt(9)
	v_mul_f64 v[141:142], v[4:5], v[98:99]
	s_waitcnt vmcnt(8)
	v_mul_f64 v[143:144], v[24:25], v[102:103]
	v_mul_f64 v[98:99], v[28:29], v[98:99]
	v_mul_f64 v[102:103], v[44:45], v[102:103]
	s_waitcnt vmcnt(7)
	v_mul_f64 v[145:146], v[46:47], v[109:110]
	s_waitcnt vmcnt(6)
	v_mul_f64 v[147:148], v[22:23], v[113:114]
	;; [unrolled: 6-line block ×5, first 2 shown]
	v_fma_f64 v[84:85], v[84:85], v[88:89], v[104:105]
	v_fma_f64 v[86:87], v[86:87], v[88:89], -v[90:91]
	v_fma_f64 v[12:13], v[12:13], v[92:93], v[139:140]
	v_fma_f64 v[40:41], v[40:41], v[92:93], -v[94:95]
	v_fma_f64 v[28:29], v[28:29], v[96:97], -v[141:142]
	;; [unrolled: 1-line block ×3, first 2 shown]
	v_fma_f64 v[4:5], v[4:5], v[96:97], v[98:99]
	v_fma_f64 v[24:25], v[24:25], v[100:101], v[102:103]
	v_mul_f64 v[88:89], v[6:7], v[137:138]
	v_mul_f64 v[90:91], v[10:11], v[133:134]
	v_fma_f64 v[26:27], v[26:27], v[107:108], v[145:146]
	v_fma_f64 v[2:3], v[2:3], v[111:112], v[147:148]
	v_fma_f64 v[46:47], v[46:47], v[107:108], -v[109:110]
	v_fma_f64 v[22:23], v[22:23], v[111:112], -v[113:114]
	v_fma_f64 v[38:39], v[38:39], v[115:116], -v[149:150]
	v_fma_f64 v[42:43], v[42:43], v[119:120], -v[151:152]
	v_fma_f64 v[14:15], v[14:15], v[119:120], v[121:122]
	v_fma_f64 v[18:19], v[18:19], v[115:116], v[117:118]
	;; [unrolled: 1-line block ×4, first 2 shown]
	v_fma_f64 v[32:33], v[32:33], v[127:128], -v[129:130]
	v_fma_f64 v[36:37], v[36:37], v[123:124], -v[125:126]
	v_fma_f64 v[10:11], v[10:11], v[131:132], v[157:158]
	v_fma_f64 v[6:7], v[6:7], v[135:136], v[159:160]
	v_add_f64 v[96:97], v[12:13], v[84:85]
	v_add_f64 v[92:93], v[40:41], v[86:87]
	;; [unrolled: 1-line block ×3, first 2 shown]
	v_add_f64 v[28:29], v[28:29], -v[44:45]
	v_add_f64 v[98:99], v[4:5], v[24:25]
	v_fma_f64 v[30:31], v[30:31], v[135:136], -v[88:89]
	v_fma_f64 v[34:35], v[34:35], v[131:132], -v[90:91]
	v_add_f64 v[4:5], v[4:5], -v[24:25]
	v_add_f64 v[100:101], v[2:3], v[26:27]
	v_add_f64 v[2:3], v[2:3], -v[26:27]
	v_add_f64 v[88:89], v[22:23], v[46:47]
	;; [unrolled: 2-line block ×3, first 2 shown]
	v_add_f64 v[102:103], v[14:15], v[18:19]
	v_add_f64 v[14:15], v[14:15], -v[18:19]
	v_add_f64 v[104:105], v[16:17], -v[8:9]
	v_add_f64 v[8:9], v[16:17], v[8:9]
	v_add_f64 v[24:25], v[36:37], v[32:33]
	v_add_f64 v[16:17], v[36:37], -v[32:33]
	v_add_f64 v[32:33], v[12:13], -v[84:85]
	;; [unrolled: 1-line block ×4, first 2 shown]
	v_add_f64 v[6:7], v[10:11], v[6:7]
	v_add_f64 v[18:19], v[92:93], v[94:95]
	;; [unrolled: 1-line block ×4, first 2 shown]
	v_add_f64 v[30:31], v[34:35], -v[30:31]
	v_add_f64 v[34:35], v[42:43], -v[38:39]
	v_add_f64 v[10:11], v[88:89], v[90:91]
	v_add_f64 v[26:27], v[100:101], v[102:103]
	v_add_f64 v[115:116], v[14:15], -v[2:3]
	v_add_f64 v[38:39], v[104:105], -v[4:5]
	;; [unrolled: 1-line block ×12, first 2 shown]
	v_add_f64 v[4:5], v[104:105], v[4:5]
	v_add_f64 v[104:105], v[36:37], -v[16:17]
	v_add_f64 v[28:29], v[16:17], v[28:29]
	v_add_f64 v[92:93], v[94:95], -v[92:93]
	v_add_f64 v[94:95], v[98:99], -v[96:97]
	v_add_f64 v[96:97], v[12:13], v[14:15]
	v_add_f64 v[131:132], v[2:3], -v[12:13]
	v_add_f64 v[18:19], v[24:25], v[18:19]
	v_add_f64 v[8:9], v[8:9], v[40:41]
	v_add_f64 v[24:25], v[44:45], -v[90:91]
	v_add_f64 v[40:41], v[30:31], -v[34:35]
	v_add_f64 v[117:118], v[34:35], -v[22:23]
	v_add_f64 v[34:35], v[30:31], v[34:35]
	v_add_f64 v[121:122], v[44:45], v[10:11]
	v_add_f64 v[44:45], v[88:89], -v[44:45]
	v_add_f64 v[26:27], v[6:7], v[26:27]
	v_add_f64 v[6:7], v[100:101], -v[6:7]
	v_mul_f64 v[38:39], v[38:39], s[2:3]
	v_mul_f64 v[46:47], v[46:47], s[10:11]
	;; [unrolled: 1-line block ×9, first 2 shown]
	v_add_f64 v[88:89], v[90:91], -v[88:89]
	v_add_f64 v[90:91], v[102:103], -v[100:101]
	v_mul_f64 v[100:101], v[119:120], s[10:11]
	v_add_f64 v[4:5], v[32:33], v[4:5]
	v_add_f64 v[28:29], v[36:37], v[28:29]
	;; [unrolled: 1-line block ×5, first 2 shown]
	v_add_f64 v[0:1], v[22:23], -v[30:31]
	v_mul_f64 v[20:21], v[24:25], s[10:11]
	v_mul_f64 v[30:31], v[115:116], s[6:7]
	;; [unrolled: 1-line block ×4, first 2 shown]
	v_add_f64 v[22:23], v[22:23], v[34:35]
	v_add_f64 v[16:17], v[78:79], v[121:122]
	;; [unrolled: 1-line block ×3, first 2 shown]
	v_mul_f64 v[76:77], v[44:45], s[12:13]
	v_mul_f64 v[78:79], v[6:7], s[12:13]
	v_fma_f64 v[32:33], v[123:124], s[14:15], v[38:39]
	v_fma_f64 v[34:35], v[107:108], s[12:13], v[42:43]
	;; [unrolled: 1-line block ×4, first 2 shown]
	v_fma_f64 v[98:99], v[123:124], s[22:23], -v[98:99]
	v_fma_f64 v[102:103], v[92:93], s[20:21], -v[125:126]
	;; [unrolled: 1-line block ×6, first 2 shown]
	v_fma_f64 v[86:87], v[131:132], s[14:15], v[113:114]
	v_fma_f64 v[42:43], v[92:93], s[16:17], -v[42:43]
	v_fma_f64 v[46:47], v[94:95], s[16:17], -v[46:47]
	v_fma_f64 v[6:7], v[6:7], s[12:13], v[100:101]
	v_fma_f64 v[18:19], v[18:19], s[18:19], v[12:13]
	;; [unrolled: 1-line block ×4, first 2 shown]
	v_fma_f64 v[30:31], v[131:132], s[22:23], -v[30:31]
	v_fma_f64 v[92:93], v[0:1], s[14:15], v[24:25]
	v_fma_f64 v[0:1], v[0:1], s[22:23], -v[40:41]
	v_fma_f64 v[40:41], v[115:116], s[6:7], -v[113:114]
	;; [unrolled: 1-line block ×3, first 2 shown]
	v_fma_f64 v[94:95], v[121:122], s[18:19], v[16:17]
	v_fma_f64 v[20:21], v[88:89], s[16:17], -v[20:21]
	v_fma_f64 v[26:27], v[26:27], s[18:19], v[14:15]
	v_fma_f64 v[76:77], v[88:89], s[20:21], -v[76:77]
	v_fma_f64 v[78:79], v[90:91], s[20:21], -v[78:79]
	;; [unrolled: 1-line block ×3, first 2 shown]
	v_fma_f64 v[90:91], v[4:5], s[24:25], v[32:33]
	v_fma_f64 v[100:101], v[28:29], s[24:25], v[96:97]
	v_fma_f64 v[96:97], v[4:5], s[24:25], v[98:99]
	v_fma_f64 v[98:99], v[28:29], s[24:25], v[104:105]
	v_fma_f64 v[4:5], v[4:5], s[24:25], v[38:39]
	v_fma_f64 v[38:39], v[28:29], s[24:25], v[84:85]
	v_fma_f64 v[104:105], v[2:3], s[24:25], v[86:87]
	v_add_f64 v[84:85], v[34:35], v[18:19]
	v_add_f64 v[34:35], v[102:103], v[18:19]
	;; [unrolled: 1-line block ×6, first 2 shown]
	v_fma_f64 v[46:47], v[22:23], s[24:25], v[92:93]
	v_fma_f64 v[92:93], v[2:3], s[24:25], v[30:31]
	;; [unrolled: 1-line block ×4, first 2 shown]
	v_add_f64 v[111:112], v[44:45], v[94:95]
	v_fma_f64 v[107:108], v[22:23], s[24:25], v[24:25]
	v_add_f64 v[6:7], v[6:7], v[26:27]
	v_add_f64 v[113:114], v[76:77], v[94:95]
	;; [unrolled: 1-line block ×5, first 2 shown]
	v_lshlrev_b64 v[0:1], 4, v[80:81]
	v_add_co_u32 v8, vcc_lo, s8, v82
	v_add_co_ci_u32_e32 v9, vcc_lo, s9, v83, vcc_lo
	s_delay_alu instid0(VALU_DEP_2) | instskip(NEXT) | instid1(VALU_DEP_2)
	v_add_co_u32 v0, vcc_lo, v8, v0
	v_add_co_ci_u32_e32 v1, vcc_lo, v9, v1, vcc_lo
	s_delay_alu instid0(VALU_DEP_2) | instskip(NEXT) | instid1(VALU_DEP_2)
	v_add_co_u32 v119, vcc_lo, 0x1000, v0
	v_add_co_ci_u32_e32 v120, vcc_lo, 0, v1, vcc_lo
	v_add_f64 v[40:41], v[84:85], -v[90:91]
	v_add_f64 v[24:25], v[96:97], v[34:35]
	v_add_f64 v[36:37], v[34:35], -v[96:97]
	v_add_f64 v[26:27], v[38:39], v[42:43]
	;; [unrolled: 2-line block ×3, first 2 shown]
	v_add_f64 v[34:35], v[98:99], v[86:87]
	v_add_f64 v[20:21], v[90:91], v[84:85]
	;; [unrolled: 1-line block ×3, first 2 shown]
	v_add_f64 v[22:23], v[86:87], -v[98:99]
	v_add_f64 v[44:45], v[111:112], -v[104:105]
	;; [unrolled: 1-line block ×3, first 2 shown]
	v_add_f64 v[42:43], v[46:47], v[6:7]
	v_add_f64 v[78:79], v[113:114], -v[92:93]
	v_add_f64 v[76:77], v[102:103], v[115:116]
	v_add_f64 v[84:85], v[2:3], v[94:95]
	v_add_f64 v[82:83], v[117:118], -v[107:108]
	v_add_f64 v[88:89], v[94:95], -v[2:3]
	v_add_f64 v[86:87], v[107:108], v[117:118]
	v_add_f64 v[92:93], v[92:93], v[113:114]
	v_add_f64 v[90:91], v[115:116], -v[102:103]
	v_add_f64 v[96:97], v[104:105], v[111:112]
	v_add_f64 v[94:95], v[6:7], -v[46:47]
	v_add_f64 v[18:19], v[109:110], -v[100:101]
	v_add_co_u32 v46, vcc_lo, 0x2000, v0
	v_add_co_ci_u32_e32 v47, vcc_lo, 0, v1, vcc_lo
	v_add_co_u32 v6, vcc_lo, 0x3000, v0
	v_add_co_ci_u32_e32 v7, vcc_lo, 0, v1, vcc_lo
	;; [unrolled: 2-line block ×6, first 2 shown]
	s_clause 0xd
	global_store_b128 v[0:1], v[14:17], off
	global_store_b128 v[0:1], v[10:13], off offset:1792
	global_store_b128 v[119:120], v[42:45], off offset:512
	;; [unrolled: 1-line block ×13, first 2 shown]
	s_and_b32 exec_lo, exec_lo, s0
	s_cbranch_execz .LBB0_20
; %bb.19:
	v_subrev_nc_u32_e32 v10, 64, v80
	v_mov_b32_e32 v11, v81
	s_delay_alu instid0(VALU_DEP_2) | instskip(NEXT) | instid1(VALU_DEP_1)
	v_cndmask_b32_e64 v10, v10, v106, s0
	v_mul_i32_i24_e32 v10, 6, v10
	s_delay_alu instid0(VALU_DEP_1) | instskip(NEXT) | instid1(VALU_DEP_1)
	v_lshlrev_b64 v[10:11], 4, v[10:11]
	v_add_co_u32 v10, vcc_lo, s4, v10
	s_delay_alu instid0(VALU_DEP_2) | instskip(NEXT) | instid1(VALU_DEP_2)
	v_add_co_ci_u32_e32 v11, vcc_lo, s5, v11, vcc_lo
	v_add_co_u32 v30, vcc_lo, 0x11e0, v10
	s_delay_alu instid0(VALU_DEP_2)
	v_add_co_ci_u32_e32 v31, vcc_lo, 0, v11, vcc_lo
	v_add_co_u32 v22, vcc_lo, 0x1000, v10
	v_add_co_ci_u32_e32 v23, vcc_lo, 0, v11, vcc_lo
	v_add_co_u32 v18, vcc_lo, 0x1220, v10
	v_add_co_ci_u32_e32 v19, vcc_lo, 0, v11, vcc_lo
	s_clause 0x5
	global_load_b128 v[10:13], v[22:23], off offset:480
	global_load_b128 v[14:17], v[30:31], off offset:16
	;; [unrolled: 1-line block ×6, first 2 shown]
	s_waitcnt vmcnt(5)
	v_mul_f64 v[34:35], v[64:65], v[12:13]
	v_mul_f64 v[12:13], v[50:51], v[12:13]
	s_waitcnt vmcnt(4)
	v_mul_f64 v[36:37], v[68:69], v[16:17]
	v_mul_f64 v[16:17], v[54:55], v[16:17]
	;; [unrolled: 3-line block ×6, first 2 shown]
	v_fma_f64 v[34:35], v[50:51], v[10:11], v[34:35]
	v_fma_f64 v[10:11], v[64:65], v[10:11], -v[12:13]
	v_fma_f64 v[12:13], v[54:55], v[14:15], v[36:37]
	v_fma_f64 v[14:15], v[68:69], v[14:15], -v[16:17]
	;; [unrolled: 2-line block ×6, first 2 shown]
	v_add_f64 v[32:33], v[34:35], v[16:17]
	v_add_f64 v[36:37], v[10:11], v[18:19]
	;; [unrolled: 1-line block ×4, first 2 shown]
	v_add_f64 v[12:13], v[12:13], -v[20:21]
	v_add_f64 v[14:15], v[14:15], -v[22:23]
	v_add_f64 v[20:21], v[24:25], v[28:29]
	v_add_f64 v[22:23], v[26:27], v[30:31]
	v_add_f64 v[24:25], v[28:29], -v[24:25]
	v_add_f64 v[26:27], v[30:31], -v[26:27]
	;; [unrolled: 1-line block ×4, first 2 shown]
	v_add_f64 v[10:11], v[38:39], v[32:33]
	v_add_f64 v[28:29], v[40:41], v[36:37]
	v_add_f64 v[30:31], v[32:33], -v[20:21]
	v_add_f64 v[34:35], v[36:37], -v[22:23]
	v_add_f64 v[42:43], v[24:25], -v[12:13]
	v_add_f64 v[44:45], v[26:27], -v[14:15]
	v_add_f64 v[46:47], v[12:13], -v[16:17]
	v_add_f64 v[50:51], v[14:15], -v[18:19]
	v_add_f64 v[54:55], v[24:25], v[12:13]
	v_add_f64 v[14:15], v[26:27], v[14:15]
	v_add_f64 v[24:25], v[16:17], -v[24:25]
	v_add_f64 v[26:27], v[18:19], -v[26:27]
	;; [unrolled: 1-line block ×4, first 2 shown]
	v_add_f64 v[52:53], v[20:21], v[10:11]
	v_add_f64 v[28:29], v[22:23], v[28:29]
	v_add_f64 v[20:21], v[20:21], -v[38:39]
	v_add_f64 v[22:23], v[22:23], -v[40:41]
	v_mul_f64 v[30:31], v[30:31], s[12:13]
	v_mul_f64 v[34:35], v[34:35], s[12:13]
	;; [unrolled: 1-line block ×6, first 2 shown]
	v_add_f64 v[16:17], v[54:55], v[16:17]
	v_add_f64 v[14:15], v[14:15], v[18:19]
	;; [unrolled: 1-line block ×4, first 2 shown]
	v_mul_f64 v[38:39], v[20:21], s[10:11]
	v_mul_f64 v[40:41], v[22:23], s[10:11]
	v_fma_f64 v[18:19], v[20:21], s[10:11], v[30:31]
	v_fma_f64 v[20:21], v[22:23], s[10:11], v[34:35]
	;; [unrolled: 1-line block ×4, first 2 shown]
	v_fma_f64 v[42:43], v[46:47], s[6:7], -v[42:43]
	v_fma_f64 v[24:25], v[24:25], s[22:23], -v[56:57]
	;; [unrolled: 1-line block ×6, first 2 shown]
	v_fma_f64 v[46:47], v[52:53], s[18:19], v[10:11]
	v_fma_f64 v[28:29], v[28:29], s[18:19], v[12:13]
	v_fma_f64 v[32:33], v[32:33], s[16:17], -v[38:39]
	v_fma_f64 v[36:37], v[36:37], s[16:17], -v[40:41]
	v_fma_f64 v[38:39], v[16:17], s[24:25], v[22:23]
	v_fma_f64 v[40:41], v[14:15], s[24:25], v[48:49]
	;; [unrolled: 1-line block ×6, first 2 shown]
	v_add_f64 v[30:31], v[30:31], v[46:47]
	v_add_f64 v[34:35], v[34:35], v[28:29]
	;; [unrolled: 1-line block ×7, first 2 shown]
	v_add_f64 v[20:21], v[34:35], -v[48:49]
	v_add_f64 v[14:15], v[40:41], v[52:53]
	v_add_f64 v[16:17], v[54:55], -v[38:39]
	v_add_f64 v[22:23], v[26:27], -v[44:45]
	v_add_f64 v[24:25], v[42:43], v[28:29]
	v_add_f64 v[30:31], v[30:31], -v[50:51]
	v_add_f64 v[32:33], v[48:49], v[34:35]
	v_add_f64 v[26:27], v[44:45], v[26:27]
	v_add_f64 v[28:29], v[28:29], -v[42:43]
	v_add_f64 v[34:35], v[52:53], -v[40:41]
	v_add_f64 v[36:37], v[38:39], v[54:55]
	v_or_b32_e32 v38, 0x200, v80
	v_mov_b32_e32 v39, v81
	v_or_b32_e32 v40, 0x440, v80
	v_mov_b32_e32 v41, v81
	v_or_b32_e32 v80, 0x680, v80
	s_delay_alu instid0(VALU_DEP_4) | instskip(NEXT) | instid1(VALU_DEP_3)
	v_lshlrev_b64 v[38:39], 4, v[38:39]
	v_lshlrev_b64 v[40:41], 4, v[40:41]
	s_delay_alu instid0(VALU_DEP_3) | instskip(NEXT) | instid1(VALU_DEP_3)
	v_lshlrev_b64 v[42:43], 4, v[80:81]
	v_add_co_u32 v38, vcc_lo, v8, v38
	s_delay_alu instid0(VALU_DEP_4) | instskip(NEXT) | instid1(VALU_DEP_4)
	v_add_co_ci_u32_e32 v39, vcc_lo, v9, v39, vcc_lo
	v_add_co_u32 v40, vcc_lo, v8, v40
	v_add_co_ci_u32_e32 v41, vcc_lo, v9, v41, vcc_lo
	v_add_co_u32 v8, vcc_lo, v8, v42
	v_add_co_ci_u32_e32 v9, vcc_lo, v9, v43, vcc_lo
	s_clause 0x6
	global_store_b128 v[0:1], v[10:13], off offset:3584
	global_store_b128 v[6:7], v[18:21], off offset:512
	global_store_b128 v[38:39], v[14:17], off
	global_store_b128 v[40:41], v[22:25], off
	;; [unrolled: 1-line block ×3, first 2 shown]
	global_store_b128 v[4:5], v[26:29], off offset:1536
	global_store_b128 v[2:3], v[34:37], off offset:2560
.LBB0_20:
	s_nop 0
	s_sendmsg sendmsg(MSG_DEALLOC_VGPRS)
	s_endpgm
	.section	.rodata,"a",@progbits
	.p2align	6, 0x0
	.amdhsa_kernel fft_rtc_back_len2016_factors_2_2_2_2_2_3_3_7_wgs_224_tpt_112_halfLds_dp_ip_CI_unitstride_sbrr_dirReg
		.amdhsa_group_segment_fixed_size 0
		.amdhsa_private_segment_fixed_size 0
		.amdhsa_kernarg_size 88
		.amdhsa_user_sgpr_count 15
		.amdhsa_user_sgpr_dispatch_ptr 0
		.amdhsa_user_sgpr_queue_ptr 0
		.amdhsa_user_sgpr_kernarg_segment_ptr 1
		.amdhsa_user_sgpr_dispatch_id 0
		.amdhsa_user_sgpr_private_segment_size 0
		.amdhsa_wavefront_size32 1
		.amdhsa_uses_dynamic_stack 0
		.amdhsa_enable_private_segment 0
		.amdhsa_system_sgpr_workgroup_id_x 1
		.amdhsa_system_sgpr_workgroup_id_y 0
		.amdhsa_system_sgpr_workgroup_id_z 0
		.amdhsa_system_sgpr_workgroup_info 0
		.amdhsa_system_vgpr_workitem_id 0
		.amdhsa_next_free_vgpr 164
		.amdhsa_next_free_sgpr 26
		.amdhsa_reserve_vcc 1
		.amdhsa_float_round_mode_32 0
		.amdhsa_float_round_mode_16_64 0
		.amdhsa_float_denorm_mode_32 3
		.amdhsa_float_denorm_mode_16_64 3
		.amdhsa_dx10_clamp 1
		.amdhsa_ieee_mode 1
		.amdhsa_fp16_overflow 0
		.amdhsa_workgroup_processor_mode 1
		.amdhsa_memory_ordered 1
		.amdhsa_forward_progress 0
		.amdhsa_shared_vgpr_count 0
		.amdhsa_exception_fp_ieee_invalid_op 0
		.amdhsa_exception_fp_denorm_src 0
		.amdhsa_exception_fp_ieee_div_zero 0
		.amdhsa_exception_fp_ieee_overflow 0
		.amdhsa_exception_fp_ieee_underflow 0
		.amdhsa_exception_fp_ieee_inexact 0
		.amdhsa_exception_int_div_zero 0
	.end_amdhsa_kernel
	.text
.Lfunc_end0:
	.size	fft_rtc_back_len2016_factors_2_2_2_2_2_3_3_7_wgs_224_tpt_112_halfLds_dp_ip_CI_unitstride_sbrr_dirReg, .Lfunc_end0-fft_rtc_back_len2016_factors_2_2_2_2_2_3_3_7_wgs_224_tpt_112_halfLds_dp_ip_CI_unitstride_sbrr_dirReg
                                        ; -- End function
	.section	.AMDGPU.csdata,"",@progbits
; Kernel info:
; codeLenInByte = 15100
; NumSgprs: 28
; NumVgprs: 164
; ScratchSize: 0
; MemoryBound: 1
; FloatMode: 240
; IeeeMode: 1
; LDSByteSize: 0 bytes/workgroup (compile time only)
; SGPRBlocks: 3
; VGPRBlocks: 20
; NumSGPRsForWavesPerEU: 28
; NumVGPRsForWavesPerEU: 164
; Occupancy: 9
; WaveLimiterHint : 1
; COMPUTE_PGM_RSRC2:SCRATCH_EN: 0
; COMPUTE_PGM_RSRC2:USER_SGPR: 15
; COMPUTE_PGM_RSRC2:TRAP_HANDLER: 0
; COMPUTE_PGM_RSRC2:TGID_X_EN: 1
; COMPUTE_PGM_RSRC2:TGID_Y_EN: 0
; COMPUTE_PGM_RSRC2:TGID_Z_EN: 0
; COMPUTE_PGM_RSRC2:TIDIG_COMP_CNT: 0
	.text
	.p2alignl 7, 3214868480
	.fill 96, 4, 3214868480
	.type	__hip_cuid_fcd96aca67727d60,@object ; @__hip_cuid_fcd96aca67727d60
	.section	.bss,"aw",@nobits
	.globl	__hip_cuid_fcd96aca67727d60
__hip_cuid_fcd96aca67727d60:
	.byte	0                               ; 0x0
	.size	__hip_cuid_fcd96aca67727d60, 1

	.ident	"AMD clang version 19.0.0git (https://github.com/RadeonOpenCompute/llvm-project roc-6.4.0 25133 c7fe45cf4b819c5991fe208aaa96edf142730f1d)"
	.section	".note.GNU-stack","",@progbits
	.addrsig
	.addrsig_sym __hip_cuid_fcd96aca67727d60
	.amdgpu_metadata
---
amdhsa.kernels:
  - .args:
      - .actual_access:  read_only
        .address_space:  global
        .offset:         0
        .size:           8
        .value_kind:     global_buffer
      - .offset:         8
        .size:           8
        .value_kind:     by_value
      - .actual_access:  read_only
        .address_space:  global
        .offset:         16
        .size:           8
        .value_kind:     global_buffer
      - .actual_access:  read_only
        .address_space:  global
        .offset:         24
        .size:           8
        .value_kind:     global_buffer
      - .offset:         32
        .size:           8
        .value_kind:     by_value
      - .actual_access:  read_only
        .address_space:  global
        .offset:         40
        .size:           8
        .value_kind:     global_buffer
      - .actual_access:  read_only
        .address_space:  global
        .offset:         48
        .size:           8
        .value_kind:     global_buffer
      - .offset:         56
        .size:           4
        .value_kind:     by_value
      - .actual_access:  read_only
        .address_space:  global
        .offset:         64
        .size:           8
        .value_kind:     global_buffer
      - .actual_access:  read_only
        .address_space:  global
        .offset:         72
        .size:           8
        .value_kind:     global_buffer
      - .address_space:  global
        .offset:         80
        .size:           8
        .value_kind:     global_buffer
    .group_segment_fixed_size: 0
    .kernarg_segment_align: 8
    .kernarg_segment_size: 88
    .language:       OpenCL C
    .language_version:
      - 2
      - 0
    .max_flat_workgroup_size: 224
    .name:           fft_rtc_back_len2016_factors_2_2_2_2_2_3_3_7_wgs_224_tpt_112_halfLds_dp_ip_CI_unitstride_sbrr_dirReg
    .private_segment_fixed_size: 0
    .sgpr_count:     28
    .sgpr_spill_count: 0
    .symbol:         fft_rtc_back_len2016_factors_2_2_2_2_2_3_3_7_wgs_224_tpt_112_halfLds_dp_ip_CI_unitstride_sbrr_dirReg.kd
    .uniform_work_group_size: 1
    .uses_dynamic_stack: false
    .vgpr_count:     164
    .vgpr_spill_count: 0
    .wavefront_size: 32
    .workgroup_processor_mode: 1
amdhsa.target:   amdgcn-amd-amdhsa--gfx1100
amdhsa.version:
  - 1
  - 2
...

	.end_amdgpu_metadata
